;; amdgpu-corpus repo=ROCm/rocFFT kind=compiled arch=gfx950 opt=O3
	.text
	.amdgcn_target "amdgcn-amd-amdhsa--gfx950"
	.amdhsa_code_object_version 6
	.protected	fft_rtc_back_len416_factors_13_2_16_wgs_64_tpt_32_sp_op_CI_CI_unitstride_sbrr_R2C_dirReg ; -- Begin function fft_rtc_back_len416_factors_13_2_16_wgs_64_tpt_32_sp_op_CI_CI_unitstride_sbrr_R2C_dirReg
	.globl	fft_rtc_back_len416_factors_13_2_16_wgs_64_tpt_32_sp_op_CI_CI_unitstride_sbrr_R2C_dirReg
	.p2align	8
	.type	fft_rtc_back_len416_factors_13_2_16_wgs_64_tpt_32_sp_op_CI_CI_unitstride_sbrr_R2C_dirReg,@function
fft_rtc_back_len416_factors_13_2_16_wgs_64_tpt_32_sp_op_CI_CI_unitstride_sbrr_R2C_dirReg: ; @fft_rtc_back_len416_factors_13_2_16_wgs_64_tpt_32_sp_op_CI_CI_unitstride_sbrr_R2C_dirReg
; %bb.0:
	s_load_dwordx4 s[4:7], s[0:1], 0x58
	s_load_dwordx4 s[8:11], s[0:1], 0x0
	;; [unrolled: 1-line block ×3, first 2 shown]
	v_lshrrev_b32_e32 v1, 5, v0
	v_lshl_or_b32 v6, s2, 1, v1
	v_mov_b32_e32 v4, 0
	s_waitcnt lgkmcnt(0)
	v_cmp_lt_u64_e64 s[2:3], s[10:11], 2
	v_mov_b32_e32 v7, v4
	s_and_b64 vcc, exec, s[2:3]
	v_mov_b64_e32 v[2:3], 0
	s_cbranch_vccnz .LBB0_8
; %bb.1:
	s_load_dwordx2 s[2:3], s[0:1], 0x10
	s_add_u32 s16, s14, 8
	s_addc_u32 s17, s15, 0
	s_add_u32 s18, s12, 8
	s_addc_u32 s19, s13, 0
	s_waitcnt lgkmcnt(0)
	s_add_u32 s20, s2, 8
	v_mov_b64_e32 v[2:3], 0
	s_addc_u32 s21, s3, 0
	s_mov_b64 s[22:23], 1
	v_mov_b64_e32 v[28:29], v[2:3]
.LBB0_2:                                ; =>This Inner Loop Header: Depth=1
	s_load_dwordx2 s[24:25], s[20:21], 0x0
                                        ; implicit-def: $vgpr30_vgpr31
	s_waitcnt lgkmcnt(0)
	v_or_b32_e32 v5, s25, v7
	v_cmp_ne_u64_e32 vcc, 0, v[4:5]
	s_and_saveexec_b64 s[2:3], vcc
	s_xor_b64 s[26:27], exec, s[2:3]
	s_cbranch_execz .LBB0_4
; %bb.3:                                ;   in Loop: Header=BB0_2 Depth=1
	v_cvt_f32_u32_e32 v1, s24
	v_cvt_f32_u32_e32 v5, s25
	s_sub_u32 s2, 0, s24
	s_subb_u32 s3, 0, s25
	v_fmac_f32_e32 v1, 0x4f800000, v5
	v_rcp_f32_e32 v1, v1
	s_nop 0
	v_mul_f32_e32 v1, 0x5f7ffffc, v1
	v_mul_f32_e32 v5, 0x2f800000, v1
	v_trunc_f32_e32 v5, v5
	v_fmac_f32_e32 v1, 0xcf800000, v5
	v_cvt_u32_f32_e32 v5, v5
	v_cvt_u32_f32_e32 v1, v1
	v_mul_lo_u32 v8, s2, v5
	v_mul_hi_u32 v10, s2, v1
	v_mul_lo_u32 v9, s3, v1
	v_add_u32_e32 v10, v10, v8
	v_mul_lo_u32 v12, s2, v1
	v_add_u32_e32 v13, v10, v9
	v_mul_hi_u32 v8, v1, v12
	v_mul_hi_u32 v11, v1, v13
	v_mul_lo_u32 v10, v1, v13
	v_mov_b32_e32 v9, v4
	v_lshl_add_u64 v[8:9], v[8:9], 0, v[10:11]
	v_mul_hi_u32 v11, v5, v12
	v_mul_lo_u32 v12, v5, v12
	v_add_co_u32_e32 v8, vcc, v8, v12
	v_mul_hi_u32 v10, v5, v13
	s_nop 0
	v_addc_co_u32_e32 v8, vcc, v9, v11, vcc
	v_mov_b32_e32 v9, v4
	s_nop 0
	v_addc_co_u32_e32 v11, vcc, 0, v10, vcc
	v_mul_lo_u32 v10, v5, v13
	v_lshl_add_u64 v[8:9], v[8:9], 0, v[10:11]
	v_add_co_u32_e32 v1, vcc, v1, v8
	v_mul_lo_u32 v10, s2, v1
	s_nop 0
	v_addc_co_u32_e32 v5, vcc, v5, v9, vcc
	v_mul_lo_u32 v8, s2, v5
	v_mul_hi_u32 v9, s2, v1
	v_add_u32_e32 v8, v9, v8
	v_mul_lo_u32 v9, s3, v1
	v_add_u32_e32 v12, v8, v9
	v_mul_hi_u32 v14, v5, v10
	v_mul_lo_u32 v15, v5, v10
	v_mul_hi_u32 v9, v1, v12
	v_mul_lo_u32 v8, v1, v12
	v_mul_hi_u32 v10, v1, v10
	v_mov_b32_e32 v11, v4
	v_lshl_add_u64 v[8:9], v[10:11], 0, v[8:9]
	v_add_co_u32_e32 v8, vcc, v8, v15
	v_mul_hi_u32 v13, v5, v12
	s_nop 0
	v_addc_co_u32_e32 v8, vcc, v9, v14, vcc
	v_mul_lo_u32 v10, v5, v12
	s_nop 0
	v_addc_co_u32_e32 v11, vcc, 0, v13, vcc
	v_mov_b32_e32 v9, v4
	v_lshl_add_u64 v[8:9], v[8:9], 0, v[10:11]
	v_add_co_u32_e32 v1, vcc, v1, v8
	v_mul_hi_u32 v10, v6, v1
	s_nop 0
	v_addc_co_u32_e32 v5, vcc, v5, v9, vcc
	v_mad_u64_u32 v[8:9], s[2:3], v6, v5, 0
	v_mov_b32_e32 v11, v4
	v_lshl_add_u64 v[8:9], v[10:11], 0, v[8:9]
	v_mad_u64_u32 v[12:13], s[2:3], v7, v1, 0
	v_add_co_u32_e32 v1, vcc, v8, v12
	v_mad_u64_u32 v[10:11], s[2:3], v7, v5, 0
	s_nop 0
	v_addc_co_u32_e32 v8, vcc, v9, v13, vcc
	v_mov_b32_e32 v9, v4
	s_nop 0
	v_addc_co_u32_e32 v11, vcc, 0, v11, vcc
	v_lshl_add_u64 v[8:9], v[8:9], 0, v[10:11]
	v_mul_lo_u32 v1, s25, v8
	v_mul_lo_u32 v5, s24, v9
	v_mad_u64_u32 v[10:11], s[2:3], s24, v8, 0
	v_add3_u32 v1, v11, v5, v1
	v_sub_u32_e32 v5, v7, v1
	v_mov_b32_e32 v11, s25
	v_sub_co_u32_e32 v14, vcc, v6, v10
	v_lshl_add_u64 v[12:13], v[8:9], 0, 1
	s_nop 0
	v_subb_co_u32_e64 v5, s[2:3], v5, v11, vcc
	v_subrev_co_u32_e64 v10, s[2:3], s24, v14
	v_subb_co_u32_e32 v1, vcc, v7, v1, vcc
	s_nop 0
	v_subbrev_co_u32_e64 v5, s[2:3], 0, v5, s[2:3]
	v_cmp_le_u32_e64 s[2:3], s25, v5
	v_cmp_le_u32_e32 vcc, s25, v1
	s_nop 0
	v_cndmask_b32_e64 v11, 0, -1, s[2:3]
	v_cmp_le_u32_e64 s[2:3], s24, v10
	s_nop 1
	v_cndmask_b32_e64 v10, 0, -1, s[2:3]
	v_cmp_eq_u32_e64 s[2:3], s25, v5
	s_nop 1
	v_cndmask_b32_e64 v5, v11, v10, s[2:3]
	v_lshl_add_u64 v[10:11], v[8:9], 0, 2
	v_cmp_ne_u32_e64 s[2:3], 0, v5
	s_nop 1
	v_cndmask_b32_e64 v5, v13, v11, s[2:3]
	v_cndmask_b32_e64 v11, 0, -1, vcc
	v_cmp_le_u32_e32 vcc, s24, v14
	s_nop 1
	v_cndmask_b32_e64 v13, 0, -1, vcc
	v_cmp_eq_u32_e32 vcc, s25, v1
	s_nop 1
	v_cndmask_b32_e32 v1, v11, v13, vcc
	v_cmp_ne_u32_e32 vcc, 0, v1
	v_cndmask_b32_e64 v1, v12, v10, s[2:3]
	s_nop 0
	v_cndmask_b32_e32 v31, v9, v5, vcc
	v_cndmask_b32_e32 v30, v8, v1, vcc
.LBB0_4:                                ;   in Loop: Header=BB0_2 Depth=1
	s_andn2_saveexec_b64 s[2:3], s[26:27]
	s_cbranch_execz .LBB0_6
; %bb.5:                                ;   in Loop: Header=BB0_2 Depth=1
	v_cvt_f32_u32_e32 v1, s24
	s_sub_i32 s26, 0, s24
	v_mov_b32_e32 v31, v4
	v_rcp_iflag_f32_e32 v1, v1
	s_nop 0
	v_mul_f32_e32 v1, 0x4f7ffffe, v1
	v_cvt_u32_f32_e32 v1, v1
	v_mul_lo_u32 v5, s26, v1
	v_mul_hi_u32 v5, v1, v5
	v_add_u32_e32 v1, v1, v5
	v_mul_hi_u32 v1, v6, v1
	v_mul_lo_u32 v5, v1, s24
	v_sub_u32_e32 v5, v6, v5
	v_add_u32_e32 v8, 1, v1
	v_subrev_u32_e32 v9, s24, v5
	v_cmp_le_u32_e32 vcc, s24, v5
	s_nop 1
	v_cndmask_b32_e32 v5, v5, v9, vcc
	v_cndmask_b32_e32 v1, v1, v8, vcc
	v_add_u32_e32 v8, 1, v1
	v_cmp_le_u32_e32 vcc, s24, v5
	s_nop 1
	v_cndmask_b32_e32 v30, v1, v8, vcc
.LBB0_6:                                ;   in Loop: Header=BB0_2 Depth=1
	s_or_b64 exec, exec, s[2:3]
	v_mad_u64_u32 v[8:9], s[2:3], v30, s24, 0
	s_load_dwordx2 s[2:3], s[18:19], 0x0
	v_mul_lo_u32 v1, v31, s24
	v_mul_lo_u32 v5, v30, s25
	s_load_dwordx2 s[24:25], s[16:17], 0x0
	s_add_u32 s22, s22, 1
	v_add3_u32 v1, v9, v5, v1
	v_sub_co_u32_e32 v5, vcc, v6, v8
	s_addc_u32 s23, s23, 0
	s_nop 0
	v_subb_co_u32_e32 v1, vcc, v7, v1, vcc
	s_add_u32 s16, s16, 8
	s_waitcnt lgkmcnt(0)
	v_mul_lo_u32 v6, s2, v1
	v_mul_lo_u32 v7, s3, v5
	v_mad_u64_u32 v[2:3], s[2:3], s2, v5, v[2:3]
	s_addc_u32 s17, s17, 0
	v_add3_u32 v3, v7, v3, v6
	v_mul_lo_u32 v1, s24, v1
	v_mul_lo_u32 v6, s25, v5
	v_mad_u64_u32 v[28:29], s[2:3], s24, v5, v[28:29]
	s_add_u32 s18, s18, 8
	v_add3_u32 v29, v6, v29, v1
	s_addc_u32 s19, s19, 0
	v_mov_b64_e32 v[6:7], s[10:11]
	s_add_u32 s20, s20, 8
	v_cmp_ge_u64_e32 vcc, s[22:23], v[6:7]
	s_addc_u32 s21, s21, 0
	s_cbranch_vccnz .LBB0_9
; %bb.7:                                ;   in Loop: Header=BB0_2 Depth=1
	v_mov_b64_e32 v[6:7], v[30:31]
	s_branch .LBB0_2
.LBB0_8:
	v_mov_b64_e32 v[28:29], v[2:3]
	v_mov_b64_e32 v[30:31], v[6:7]
.LBB0_9:
	s_load_dwordx2 s[2:3], s[0:1], 0x28
	s_lshl_b64 s[16:17], s[10:11], 3
	s_add_u32 s10, s14, s16
	v_and_b32_e32 v1, 32, v0
	s_addc_u32 s11, s15, s17
	v_cmp_ne_u32_e64 s[0:1], 0, v1
	v_mov_b32_e32 v1, 0x1a1
	s_waitcnt lgkmcnt(0)
	v_cmp_gt_u64_e32 vcc, s[2:3], v[30:31]
	v_cmp_le_u64_e64 s[2:3], s[2:3], v[30:31]
	v_and_b32_e32 v32, 31, v0
                                        ; implicit-def: $vgpr34
                                        ; implicit-def: $vgpr44
                                        ; implicit-def: $vgpr42
                                        ; implicit-def: $vgpr40
                                        ; implicit-def: $vgpr38
                                        ; implicit-def: $vgpr36
	s_and_saveexec_b64 s[14:15], s[2:3]
	s_xor_b64 s[2:3], exec, s[14:15]
; %bb.10:
	v_and_b32_e32 v32, 31, v0
	v_or_b32_e32 v34, 32, v32
	v_or_b32_e32 v44, 64, v32
	v_or_b32_e32 v42, 0x60, v32
	v_or_b32_e32 v40, 0x80, v32
	v_or_b32_e32 v38, 0xa0, v32
	v_or_b32_e32 v36, 0xc0, v32
                                        ; implicit-def: $vgpr2_vgpr3
; %bb.11:
	s_or_saveexec_b64 s[2:3], s[2:3]
	v_cndmask_b32_e64 v0, 0, v1, s[0:1]
	v_lshlrev_b32_e32 v39, 3, v0
	s_xor_b64 exec, exec, s[2:3]
	s_cbranch_execz .LBB0_13
; %bb.12:
	s_add_u32 s0, s12, s16
	s_addc_u32 s1, s13, s17
	s_load_dwordx2 s[0:1], s[0:1], 0x0
	v_lshlrev_b32_e32 v0, 3, v32
	v_or_b32_e32 v34, 32, v32
	v_or_b32_e32 v44, 64, v32
	;; [unrolled: 1-line block ×3, first 2 shown]
	s_waitcnt lgkmcnt(0)
	v_mul_lo_u32 v1, s1, v30
	v_mul_lo_u32 v6, s0, v31
	v_mad_u64_u32 v[4:5], s[0:1], s0, v30, 0
	v_add3_u32 v5, v5, v6, v1
	v_lshl_add_u64 v[4:5], v[4:5], 3, s[4:5]
	v_lshl_add_u64 v[2:3], v[2:3], 3, v[4:5]
	v_mov_b32_e32 v1, 0
	v_lshl_add_u64 v[2:3], v[2:3], 0, v[0:1]
	global_load_dwordx2 v[4:5], v[2:3], off
	global_load_dwordx2 v[6:7], v[2:3], off offset:256
	global_load_dwordx2 v[8:9], v[2:3], off offset:512
	;; [unrolled: 1-line block ×12, first 2 shown]
	v_or_b32_e32 v40, 0x80, v32
	v_or_b32_e32 v38, 0xa0, v32
	;; [unrolled: 1-line block ×3, first 2 shown]
	v_add3_u32 v0, 0, v39, v0
	v_add_u32_e32 v1, 0x800, v0
	s_waitcnt vmcnt(11)
	ds_write2_b64 v0, v[4:5], v[6:7] offset1:32
	s_waitcnt vmcnt(9)
	ds_write2_b64 v0, v[8:9], v[10:11] offset0:64 offset1:96
	s_waitcnt vmcnt(7)
	ds_write2_b64 v0, v[12:13], v[14:15] offset0:128 offset1:160
	;; [unrolled: 2-line block ×3, first 2 shown]
	s_waitcnt vmcnt(3)
	ds_write2_b64 v1, v[20:21], v[22:23] offset1:32
	s_waitcnt vmcnt(1)
	ds_write2_b64 v1, v[24:25], v[26:27] offset0:64 offset1:96
	s_waitcnt vmcnt(0)
	ds_write_b64 v0, v[46:47] offset:3072
.LBB0_13:
	s_or_b64 exec, exec, s[2:3]
	v_add_u32_e32 v104, 0, v39
	v_lshlrev_b32_e32 v33, 3, v32
	v_add_u32_e32 v37, v104, v33
	v_add3_u32 v35, 0, v33, v39
	s_load_dwordx2 s[2:3], s[10:11], 0x0
	s_waitcnt lgkmcnt(0)
	; wave barrier
	s_waitcnt lgkmcnt(0)
	ds_read_b64 v[0:1], v37
	ds_read2_b64 v[24:27], v35 offset0:96 offset1:128
	ds_read2_b64 v[46:49], v35 offset0:160 offset1:192
	v_add_u32_e32 v41, 0x800, v35
	ds_read2_b64 v[4:7], v35 offset0:32 offset1:64
	ds_read2_b64 v[54:57], v41 offset0:96 offset1:128
	v_add_u32_e32 v2, 0x400, v35
	ds_read2_b64 v[50:53], v2 offset0:96 offset1:128
	ds_read2_b64 v[58:61], v41 offset0:32 offset1:64
	s_mov_b32 s12, 0xbeedf032
	s_waitcnt lgkmcnt(3)
	v_pk_add_f32 v[16:17], v[0:1], v[4:5]
	s_waitcnt lgkmcnt(2)
	v_pk_add_f32 v[12:13], v[54:55], v[6:7]
	v_pk_add_f32 v[14:15], v[6:7], v[54:55] neg_lo:[0,1] neg_hi:[0,1]
	v_pk_add_f32 v[6:7], v[16:17], v[6:7]
	v_pk_add_f32 v[8:9], v[56:57], v[4:5]
	;; [unrolled: 1-line block ×3, first 2 shown]
	v_pk_add_f32 v[10:11], v[4:5], v[56:57] neg_lo:[0,1] neg_hi:[0,1]
	v_pk_add_f32 v[6:7], v[6:7], v[26:27]
	s_mov_b32 s13, 0x3f62ad3f
	v_pk_add_f32 v[6:7], v[6:7], v[46:47]
	s_mov_b32 s4, 0xbf52af12
	;; [unrolled: 2-line block ×3, first 2 shown]
	s_waitcnt lgkmcnt(1)
	v_pk_add_f32 v[6:7], v[6:7], v[50:51]
	s_mov_b32 s11, s12
	v_pk_add_f32 v[6:7], v[6:7], v[52:53]
	s_mov_b32 s0, 0x3f116cb1
	s_waitcnt lgkmcnt(0)
	v_pk_add_f32 v[6:7], v[6:7], v[58:59]
	v_pk_mul_f32 v[2:3], v[10:11], s[4:5] op_sel_hi:[1,0]
	v_pk_add_f32 v[6:7], v[6:7], v[60:61]
	v_pk_add_f32 v[18:19], v[52:53], v[46:47]
	;; [unrolled: 1-line block ×3, first 2 shown]
	v_pk_add_f32 v[22:23], v[46:47], v[52:53] neg_lo:[0,1] neg_hi:[0,1]
	v_pk_add_f32 v[74:75], v[6:7], v[56:57]
	v_mov_b32_e32 v6, v8
	v_mov_b32_e32 v7, v10
	v_pk_add_f32 v[16:17], v[50:51], v[48:49]
	v_pk_add_f32 v[20:21], v[48:49], v[50:51] neg_lo:[0,1] neg_hi:[0,1]
	v_pk_add_f32 v[48:49], v[60:61], v[24:25]
	v_pk_add_f32 v[52:53], v[24:25], v[60:61] neg_lo:[0,1] neg_hi:[0,1]
	;; [unrolled: 2-line block ×3, first 2 shown]
	v_mov_b32_e32 v24, v11
	v_mov_b32_e32 v25, v9
	v_pk_mul_f32 v[26:27], v[6:7], s[10:11]
	v_pk_fma_f32 v[4:5], v[8:9], s[0:1], v[2:3] op_sel:[0,0,1] op_sel_hi:[1,0,0]
	v_pk_fma_f32 v[2:3], v[8:9], s[0:1], v[2:3] op_sel:[0,0,1] op_sel_hi:[1,0,0] neg_lo:[0,0,1] neg_hi:[0,0,1]
	v_pk_fma_f32 v[54:55], v[24:25], s[12:13], v[26:27]
	v_pk_fma_f32 v[6:7], v[24:25], s[12:13], v[26:27] neg_lo:[1,0,0] neg_hi:[1,0,0]
	v_pk_fma_f32 v[24:25], v[24:25], s[12:13], v[26:27] neg_lo:[0,0,1] neg_hi:[0,0,1]
	v_mov_b32_e32 v26, v12
	v_mov_b32_e32 v27, v14
	s_mov_b32 s1, s4
	v_mov_b32_e32 v58, v15
	v_mov_b32_e32 v59, v13
	s_mov_b32 s5, s0
	v_pk_mul_f32 v[26:27], v[26:27], s[0:1]
	v_mov_b32_e32 v7, v55
	v_mov_b32_e32 v55, v25
	v_pk_fma_f32 v[24:25], v[58:59], s[4:5], v[26:27]
	v_pk_fma_f32 v[56:57], v[58:59], s[4:5], v[26:27] neg_lo:[1,0,0] neg_hi:[1,0,0]
	v_pk_fma_f32 v[26:27], v[58:59], s[4:5], v[26:27] neg_lo:[0,0,1] neg_hi:[0,0,1]
	s_mov_b32 s12, 0x3f7e222b
	s_mov_b32 s10, 0x3df6dbef
	v_mov_b32_e32 v57, v25
	v_mov_b32_e32 v25, v27
	v_pk_mul_f32 v[58:59], v[22:23], s[12:13] op_sel_hi:[1,0]
	v_pk_add_f32 v[26:27], v[0:1], v[54:55]
	s_mov_b32 s26, 0xbf7e222b
	v_pk_add_f32 v[54:55], v[24:25], v[26:27]
	v_pk_fma_f32 v[26:27], v[18:19], s[10:11], v[58:59] op_sel:[0,0,1] op_sel_hi:[1,0,0]
	v_pk_fma_f32 v[24:25], v[18:19], s[10:11], v[58:59] op_sel:[0,0,1] op_sel_hi:[1,0,0] neg_lo:[0,0,1] neg_hi:[0,0,1]
	v_mov_b32_e32 v60, v48
	v_mov_b32_e32 v61, v52
	s_mov_b32 s11, s26
	v_mov_b32_e32 v58, v53
	v_mov_b32_e32 v59, v49
	s_mov_b32 s27, s10
	v_pk_mul_f32 v[60:61], v[60:61], s[10:11]
	s_mov_b32 s16, 0xbf6f5d39
	v_pk_fma_f32 v[62:63], v[58:59], s[26:27], v[60:61]
	v_pk_fma_f32 v[64:65], v[58:59], s[26:27], v[60:61] neg_lo:[1,0,0] neg_hi:[1,0,0]
	v_pk_fma_f32 v[58:59], v[58:59], s[26:27], v[60:61] neg_lo:[0,0,1] neg_hi:[0,0,1]
	v_mov_b32_e32 v65, v63
	v_mov_b32_e32 v63, v59
	v_pk_add_f32 v[60:61], v[62:63], v[54:55]
	s_mov_b32 s14, 0xbeb58ec6
	v_pk_mul_f32 v[54:55], v[14:15], s[16:17] op_sel_hi:[1,0]
	v_mov_b32_e32 v66, v46
	v_pk_fma_f32 v[58:59], v[12:13], s[14:15], v[54:55] op_sel:[0,0,1] op_sel_hi:[1,0,0]
	v_pk_fma_f32 v[54:55], v[12:13], s[14:15], v[54:55] op_sel:[0,0,1] op_sel_hi:[1,0,0] neg_lo:[0,0,1] neg_hi:[0,0,1]
	v_mov_b32_e32 v67, v50
	s_mov_b32 s15, s16
	v_mov_b32_e32 v62, v51
	v_mov_b32_e32 v63, v47
	s_mov_b32 s17, s14
	v_pk_mul_f32 v[66:67], v[66:67], s[14:15]
	s_mov_b32 s34, 0x3f29c268
	v_pk_fma_f32 v[70:71], v[62:63], s[16:17], v[66:67]
	v_pk_fma_f32 v[68:69], v[62:63], s[16:17], v[66:67] neg_lo:[1,0,0] neg_hi:[1,0,0]
	v_pk_fma_f32 v[62:63], v[62:63], s[16:17], v[66:67] neg_lo:[0,0,1] neg_hi:[0,0,1]
	v_mov_b32_e32 v69, v71
	v_mov_b32_e32 v71, v63
	v_pk_add_f32 v[66:67], v[70:71], v[60:61]
	s_mov_b32 s18, 0xbf3f9e67
	v_pk_mul_f32 v[60:61], v[50:51], s[34:35] op_sel_hi:[1,0]
	s_mov_b32 s20, 0xbf29c268
	v_pk_fma_f32 v[62:63], v[46:47], s[18:19], v[60:61] op_sel:[0,0,1] op_sel_hi:[1,0,0]
	v_pk_fma_f32 v[60:61], v[46:47], s[18:19], v[60:61] op_sel:[0,0,1] op_sel_hi:[1,0,0] neg_lo:[0,0,1] neg_hi:[0,0,1]
	v_mov_b32_e32 v72, v18
	v_mov_b32_e32 v73, v22
	s_mov_b32 s19, s20
	v_mov_b32_e32 v70, v23
	v_mov_b32_e32 v71, v19
	s_mov_b32 s21, s18
	v_pk_mul_f32 v[76:77], v[72:73], s[18:19]
	s_mov_b32 s24, 0xbe750f2a
	v_pk_fma_f32 v[78:79], v[70:71], s[20:21], v[76:77]
	v_pk_fma_f32 v[72:73], v[70:71], s[20:21], v[76:77] neg_lo:[1,0,0] neg_hi:[1,0,0]
	v_pk_fma_f32 v[70:71], v[70:71], s[20:21], v[76:77] neg_lo:[0,0,1] neg_hi:[0,0,1]
	v_mov_b32_e32 v73, v79
	v_mov_b32_e32 v79, v71
	v_pk_add_f32 v[76:77], v[78:79], v[66:67]
	s_mov_b32 s22, 0xbf788fa5
	v_pk_mul_f32 v[66:67], v[52:53], s[24:25] op_sel_hi:[1,0]
	v_mov_b32_e32 v78, v16
	v_pk_fma_f32 v[70:71], v[48:49], s[22:23], v[66:67] op_sel:[0,0,1] op_sel_hi:[1,0,0]
	v_pk_fma_f32 v[66:67], v[48:49], s[22:23], v[66:67] op_sel:[0,0,1] op_sel_hi:[1,0,0] neg_lo:[0,0,1] neg_hi:[0,0,1]
	v_mov_b32_e32 v79, v20
	s_mov_b32 s23, s24
	v_mov_b32_e32 v80, v21
	v_mov_b32_e32 v81, v17
	s_mov_b32 s25, s22
	v_pk_mul_f32 v[82:83], v[78:79], s[22:23]
	s_movk_i32 s1, 0x60
	v_pk_fma_f32 v[84:85], v[80:81], s[24:25], v[82:83]
	v_pk_fma_f32 v[78:79], v[80:81], s[24:25], v[82:83] neg_lo:[1,0,0] neg_hi:[1,0,0]
	v_pk_fma_f32 v[80:81], v[80:81], s[24:25], v[82:83] neg_lo:[0,0,1] neg_hi:[0,0,1]
	v_mov_b32_e32 v79, v85
	v_mov_b32_e32 v85, v81
	v_pk_add_f32 v[76:77], v[84:85], v[76:77]
	v_mad_u32_u24 v43, v32, s1, v35
	s_waitcnt lgkmcnt(0)
	; wave barrier
	ds_write2_b64 v43, v[74:75], v[76:77] offset1:1
	v_mov_b32_e32 v74, v4
	v_mov_b32_e32 v75, v3
	;; [unrolled: 1-line block ×4, first 2 shown]
	v_pk_add_f32 v[74:75], v[0:1], v[74:75]
	s_mov_b32 s30, 0x3eedf032
	v_pk_add_f32 v[74:75], v[76:77], v[74:75]
	v_mov_b32_e32 v76, v70
	v_mov_b32_e32 v77, v67
	v_pk_add_f32 v[74:75], v[76:77], v[74:75]
	v_mov_b32_e32 v76, v62
	v_mov_b32_e32 v77, v61
	;; [unrolled: 3-line block ×3, first 2 shown]
	v_pk_add_f32 v[80:81], v[76:77], v[74:75]
	s_mov_b32 s28, s13
	v_pk_mul_f32 v[76:77], v[20:21], s[30:31] op_sel_hi:[1,0]
	s_mov_b32 s36, 0x3f6f5d39
	v_pk_fma_f32 v[74:75], v[16:17], s[28:29], v[76:77] op_sel:[0,0,1] op_sel_hi:[1,0,0]
	v_pk_fma_f32 v[76:77], v[16:17], s[28:29], v[76:77] op_sel:[0,0,1] op_sel_hi:[1,0,0] neg_lo:[0,0,1] neg_hi:[0,0,1]
	v_mov_b32_e32 v82, v74
	v_mov_b32_e32 v83, v77
	v_pk_add_f32 v[106:107], v[82:83], v[80:81]
	v_pk_mul_f32 v[80:81], v[10:11], s[26:27] op_sel_hi:[1,0]
	v_pk_mul_f32 v[82:83], v[14:15], s[24:25] op_sel_hi:[1,0]
	v_pk_fma_f32 v[84:85], v[8:9], s[10:11], v[80:81] op_sel:[0,0,1] op_sel_hi:[1,0,0]
	v_pk_fma_f32 v[80:81], v[8:9], s[10:11], v[80:81] op_sel:[0,0,1] op_sel_hi:[1,0,0] neg_lo:[0,0,1] neg_hi:[0,0,1]
	v_mov_b32_e32 v88, v84
	v_mov_b32_e32 v89, v81
	v_pk_fma_f32 v[86:87], v[12:13], s[22:23], v[82:83] op_sel:[0,0,1] op_sel_hi:[1,0,0]
	v_pk_fma_f32 v[82:83], v[12:13], s[22:23], v[82:83] op_sel:[0,0,1] op_sel_hi:[1,0,0] neg_lo:[0,0,1] neg_hi:[0,0,1]
	v_mov_b32_e32 v90, v86
	v_mov_b32_e32 v91, v83
	v_pk_add_f32 v[88:89], v[0:1], v[88:89]
	v_pk_mul_f32 v[112:113], v[14:15], s[34:35] op_sel_hi:[1,0]
	v_pk_add_f32 v[90:91], v[90:91], v[88:89]
	v_pk_mul_f32 v[88:89], v[52:53], s[36:37] op_sel_hi:[1,0]
	v_pk_fma_f32 v[114:115], v[12:13], s[18:19], v[112:113] op_sel:[0,0,1] op_sel_hi:[1,0,0]
	v_pk_fma_f32 v[92:93], v[48:49], s[14:15], v[88:89] op_sel:[0,0,1] op_sel_hi:[1,0,0]
	v_pk_fma_f32 v[88:89], v[48:49], s[14:15], v[88:89] op_sel:[0,0,1] op_sel_hi:[1,0,0] neg_lo:[0,0,1] neg_hi:[0,0,1]
	v_mov_b32_e32 v94, v92
	v_mov_b32_e32 v95, v89
	v_pk_add_f32 v[96:97], v[94:95], v[90:91]
	v_pk_mul_f32 v[90:91], v[50:51], s[30:31] op_sel_hi:[1,0]
	v_pk_fma_f32 v[112:113], v[12:13], s[18:19], v[112:113] op_sel:[0,0,1] op_sel_hi:[1,0,0] neg_lo:[0,0,1] neg_hi:[0,0,1]
	v_pk_fma_f32 v[94:95], v[46:47], s[28:29], v[90:91] op_sel:[0,0,1] op_sel_hi:[1,0,0]
	v_pk_fma_f32 v[90:91], v[46:47], s[28:29], v[90:91] op_sel:[0,0,1] op_sel_hi:[1,0,0] neg_lo:[0,0,1] neg_hi:[0,0,1]
	v_mov_b32_e32 v98, v94
	v_mov_b32_e32 v99, v91
	v_pk_add_f32 v[100:101], v[98:99], v[96:97]
	v_pk_mul_f32 v[96:97], v[22:23], s[4:5] op_sel_hi:[1,0]
	v_mov_b32_e32 v116, v114
	v_pk_fma_f32 v[98:99], v[18:19], s[0:1], v[96:97] op_sel:[0,0,1] op_sel_hi:[1,0,0]
	v_pk_fma_f32 v[96:97], v[18:19], s[0:1], v[96:97] op_sel:[0,0,1] op_sel_hi:[1,0,0] neg_lo:[0,0,1] neg_hi:[0,0,1]
	v_mov_b32_e32 v102, v98
	v_mov_b32_e32 v103, v97
	v_pk_add_f32 v[108:109], v[102:103], v[100:101]
	v_pk_mul_f32 v[102:103], v[20:21], s[20:21] op_sel_hi:[1,0]
	v_mov_b32_e32 v117, v113
	v_pk_fma_f32 v[100:101], v[16:17], s[18:19], v[102:103] op_sel:[0,0,1] op_sel_hi:[1,0,0]
	v_pk_fma_f32 v[102:103], v[16:17], s[18:19], v[102:103] op_sel:[0,0,1] op_sel_hi:[1,0,0] neg_lo:[0,0,1] neg_hi:[0,0,1]
	v_mov_b32_e32 v110, v100
	v_mov_b32_e32 v111, v103
	v_pk_add_f32 v[108:109], v[110:111], v[108:109]
	ds_write2_b64 v43, v[106:107], v[108:109] offset0:2 offset1:3
	v_pk_mul_f32 v[106:107], v[10:11], s[16:17] op_sel_hi:[1,0]
	s_mov_b32 s34, 0x3f52af12
	v_pk_fma_f32 v[108:109], v[8:9], s[14:15], v[106:107] op_sel:[0,0,1] op_sel_hi:[1,0,0]
	v_pk_fma_f32 v[106:107], v[8:9], s[14:15], v[106:107] op_sel:[0,0,1] op_sel_hi:[1,0,0] neg_lo:[0,0,1] neg_hi:[0,0,1]
	v_mov_b32_e32 v110, v108
	v_mov_b32_e32 v111, v107
	v_pk_add_f32 v[110:111], v[0:1], v[110:111]
	v_pk_mul_f32 v[138:139], v[14:15], s[12:13] op_sel_hi:[1,0]
	v_pk_add_f32 v[110:111], v[116:117], v[110:111]
	v_pk_mul_f32 v[116:117], v[52:53], s[30:31] op_sel_hi:[1,0]
	v_pk_fma_f32 v[140:141], v[12:13], s[10:11], v[138:139] op_sel:[0,0,1] op_sel_hi:[1,0,0]
	v_pk_fma_f32 v[118:119], v[48:49], s[28:29], v[116:117] op_sel:[0,0,1] op_sel_hi:[1,0,0]
	v_pk_fma_f32 v[116:117], v[48:49], s[28:29], v[116:117] op_sel:[0,0,1] op_sel_hi:[1,0,0] neg_lo:[0,0,1] neg_hi:[0,0,1]
	v_mov_b32_e32 v120, v118
	v_mov_b32_e32 v121, v117
	v_pk_add_f32 v[110:111], v[120:121], v[110:111]
	v_pk_mul_f32 v[120:121], v[50:51], s[26:27] op_sel_hi:[1,0]
	s_mov_b32 s26, 0x3e750f2a
	v_pk_fma_f32 v[122:123], v[46:47], s[10:11], v[120:121] op_sel:[0,0,1] op_sel_hi:[1,0,0]
	v_pk_fma_f32 v[120:121], v[46:47], s[10:11], v[120:121] op_sel:[0,0,1] op_sel_hi:[1,0,0] neg_lo:[0,0,1] neg_hi:[0,0,1]
	v_mov_b32_e32 v124, v122
	v_mov_b32_e32 v125, v121
	v_pk_add_f32 v[110:111], v[124:125], v[110:111]
	v_pk_mul_f32 v[124:125], v[22:23], s[26:27] op_sel_hi:[1,0]
	v_pk_fma_f32 v[138:139], v[12:13], s[10:11], v[138:139] op_sel:[0,0,1] op_sel_hi:[1,0,0] neg_lo:[0,0,1] neg_hi:[0,0,1]
	v_pk_fma_f32 v[126:127], v[18:19], s[22:23], v[124:125] op_sel:[0,0,1] op_sel_hi:[1,0,0]
	v_pk_fma_f32 v[124:125], v[18:19], s[22:23], v[124:125] op_sel:[0,0,1] op_sel_hi:[1,0,0] neg_lo:[0,0,1] neg_hi:[0,0,1]
	v_mov_b32_e32 v128, v126
	v_mov_b32_e32 v129, v125
	v_pk_add_f32 v[110:111], v[128:129], v[110:111]
	v_pk_mul_f32 v[128:129], v[20:21], s[34:35] op_sel_hi:[1,0]
	v_mov_b32_e32 v142, v140
	v_pk_fma_f32 v[130:131], v[16:17], s[0:1], v[128:129] op_sel:[0,0,1] op_sel_hi:[1,0,0]
	v_pk_fma_f32 v[128:129], v[16:17], s[0:1], v[128:129] op_sel:[0,0,1] op_sel_hi:[1,0,0] neg_lo:[0,0,1] neg_hi:[0,0,1]
	v_mov_b32_e32 v132, v130
	v_mov_b32_e32 v133, v129
	v_pk_add_f32 v[110:111], v[132:133], v[110:111]
	v_pk_mul_f32 v[132:133], v[10:11], s[20:21] op_sel_hi:[1,0]
	v_mov_b32_e32 v143, v139
	v_pk_fma_f32 v[134:135], v[8:9], s[18:19], v[132:133] op_sel:[0,0,1] op_sel_hi:[1,0,0]
	v_pk_fma_f32 v[132:133], v[8:9], s[18:19], v[132:133] op_sel:[0,0,1] op_sel_hi:[1,0,0] neg_lo:[0,0,1] neg_hi:[0,0,1]
	v_mov_b32_e32 v136, v134
	v_mov_b32_e32 v137, v133
	v_pk_add_f32 v[136:137], v[0:1], v[136:137]
	v_pk_mul_f32 v[10:11], v[10:11], s[24:25] op_sel_hi:[1,0]
	v_pk_add_f32 v[136:137], v[142:143], v[136:137]
	v_pk_mul_f32 v[142:143], v[52:53], s[4:5] op_sel_hi:[1,0]
	v_pk_add_f32 v[6:7], v[0:1], v[6:7]
	v_pk_fma_f32 v[144:145], v[48:49], s[0:1], v[142:143] op_sel:[0,0,1] op_sel_hi:[1,0,0]
	v_pk_fma_f32 v[142:143], v[48:49], s[0:1], v[142:143] op_sel:[0,0,1] op_sel_hi:[1,0,0] neg_lo:[0,0,1] neg_hi:[0,0,1]
	v_mov_b32_e32 v146, v144
	v_mov_b32_e32 v147, v143
	v_pk_add_f32 v[136:137], v[146:147], v[136:137]
	v_pk_mul_f32 v[146:147], v[50:51], s[26:27] op_sel_hi:[1,0]
	v_pk_add_f32 v[6:7], v[56:57], v[6:7]
	v_pk_fma_f32 v[148:149], v[46:47], s[22:23], v[146:147] op_sel:[0,0,1] op_sel_hi:[1,0,0]
	v_pk_fma_f32 v[146:147], v[46:47], s[22:23], v[146:147] op_sel:[0,0,1] op_sel_hi:[1,0,0] neg_lo:[0,0,1] neg_hi:[0,0,1]
	v_mov_b32_e32 v150, v148
	v_mov_b32_e32 v151, v147
	v_pk_add_f32 v[136:137], v[150:151], v[136:137]
	v_pk_mul_f32 v[150:151], v[22:23], s[30:31] op_sel_hi:[1,0]
	v_pk_mul_f32 v[22:23], v[22:23], s[16:17] op_sel_hi:[1,0]
	v_pk_fma_f32 v[152:153], v[18:19], s[28:29], v[150:151] op_sel:[0,0,1] op_sel_hi:[1,0,0]
	v_pk_fma_f32 v[150:151], v[18:19], s[28:29], v[150:151] op_sel:[0,0,1] op_sel_hi:[1,0,0] neg_lo:[0,0,1] neg_hi:[0,0,1]
	v_mov_b32_e32 v154, v152
	v_mov_b32_e32 v155, v151
	v_pk_add_f32 v[136:137], v[154:155], v[136:137]
	v_pk_mul_f32 v[154:155], v[20:21], s[16:17] op_sel_hi:[1,0]
	v_pk_mul_f32 v[20:21], v[20:21], s[12:13] op_sel_hi:[1,0]
	v_pk_fma_f32 v[156:157], v[16:17], s[14:15], v[154:155] op_sel:[0,0,1] op_sel_hi:[1,0,0]
	v_pk_fma_f32 v[154:155], v[16:17], s[14:15], v[154:155] op_sel:[0,0,1] op_sel_hi:[1,0,0] neg_lo:[0,0,1] neg_hi:[0,0,1]
	v_mov_b32_e32 v158, v156
	v_mov_b32_e32 v159, v155
	v_pk_add_f32 v[136:137], v[158:159], v[136:137]
	ds_write2_b64 v43, v[110:111], v[136:137] offset0:4 offset1:5
	v_pk_fma_f32 v[110:111], v[8:9], s[22:23], v[10:11] op_sel:[0,0,1] op_sel_hi:[1,0,0]
	v_pk_fma_f32 v[8:9], v[8:9], s[22:23], v[10:11] op_sel:[0,0,1] op_sel_hi:[1,0,0] neg_lo:[0,0,1] neg_hi:[0,0,1]
	v_pk_mul_f32 v[10:11], v[14:15], s[30:31] op_sel_hi:[1,0]
	v_pk_add_f32 v[6:7], v[64:65], v[6:7]
	v_pk_fma_f32 v[14:15], v[12:13], s[28:29], v[10:11] op_sel:[0,0,1] op_sel_hi:[1,0,0]
	v_pk_fma_f32 v[10:11], v[12:13], s[28:29], v[10:11] op_sel:[0,0,1] op_sel_hi:[1,0,0] neg_lo:[0,0,1] neg_hi:[0,0,1]
	v_pk_mul_f32 v[12:13], v[52:53], s[20:21] op_sel_hi:[1,0]
	v_mov_b32_e32 v136, v14
	v_pk_fma_f32 v[52:53], v[48:49], s[18:19], v[12:13] op_sel:[0,0,1] op_sel_hi:[1,0,0]
	v_pk_fma_f32 v[12:13], v[48:49], s[18:19], v[12:13] op_sel:[0,0,1] op_sel_hi:[1,0,0] neg_lo:[0,0,1] neg_hi:[0,0,1]
	v_pk_mul_f32 v[48:49], v[50:51], s[34:35] op_sel_hi:[1,0]
	v_mov_b32_e32 v137, v11
	v_pk_fma_f32 v[50:51], v[46:47], s[0:1], v[48:49] op_sel:[0,0,1] op_sel_hi:[1,0,0]
	v_pk_fma_f32 v[46:47], v[46:47], s[0:1], v[48:49] op_sel:[0,0,1] op_sel_hi:[1,0,0] neg_lo:[0,0,1] neg_hi:[0,0,1]
	v_pk_fma_f32 v[48:49], v[18:19], s[14:15], v[22:23] op_sel:[0,0,1] op_sel_hi:[1,0,0]
	v_pk_fma_f32 v[18:19], v[18:19], s[14:15], v[22:23] op_sel:[0,0,1] op_sel_hi:[1,0,0] neg_lo:[0,0,1] neg_hi:[0,0,1]
	v_mov_b32_e32 v22, v110
	v_mov_b32_e32 v23, v9
	v_pk_add_f32 v[22:23], v[0:1], v[22:23]
	v_mov_b32_e32 v9, v111
	v_pk_add_f32 v[22:23], v[136:137], v[22:23]
	v_mov_b32_e32 v136, v52
	v_mov_b32_e32 v137, v13
	v_mov_b32_e32 v11, v15
	v_pk_add_f32 v[8:9], v[0:1], v[8:9]
	v_pk_add_f32 v[22:23], v[136:137], v[22:23]
	v_mov_b32_e32 v136, v50
	v_mov_b32_e32 v137, v47
	v_mov_b32_e32 v13, v53
	v_pk_add_f32 v[8:9], v[10:11], v[8:9]
	;; [unrolled: 5-line block ×3, first 2 shown]
	v_pk_add_f32 v[22:23], v[136:137], v[22:23]
	v_pk_fma_f32 v[136:137], v[16:17], s[10:11], v[20:21] op_sel:[0,0,1] op_sel_hi:[1,0,0]
	v_pk_fma_f32 v[16:17], v[16:17], s[10:11], v[20:21] op_sel:[0,0,1] op_sel_hi:[1,0,0] neg_lo:[0,0,1] neg_hi:[0,0,1]
	v_mov_b32_e32 v19, v49
	v_pk_add_f32 v[8:9], v[46:47], v[8:9]
	v_mov_b32_e32 v20, v136
	v_mov_b32_e32 v21, v17
	v_pk_add_f32 v[8:9], v[18:19], v[8:9]
	v_mov_b32_e32 v17, v137
	v_pk_add_f32 v[6:7], v[68:69], v[6:7]
	v_pk_add_f32 v[20:21], v[20:21], v[22:23]
	;; [unrolled: 1-line block ×3, first 2 shown]
	v_mov_b32_e32 v133, v135
	v_mov_b32_e32 v107, v109
	v_pk_add_f32 v[6:7], v[72:73], v[6:7]
	v_mov_b32_e32 v81, v85
	v_mov_b32_e32 v3, v5
	ds_write2_b64 v43, v[20:21], v[8:9] offset0:6 offset1:7
	v_mov_b32_e32 v139, v141
	v_pk_add_f32 v[8:9], v[0:1], v[132:133]
	v_mov_b32_e32 v113, v115
	v_pk_add_f32 v[10:11], v[0:1], v[106:107]
	v_pk_add_f32 v[14:15], v[78:79], v[6:7]
	v_mov_b32_e32 v83, v87
	v_pk_add_f32 v[6:7], v[0:1], v[80:81]
	v_mov_b32_e32 v55, v59
	;; [unrolled: 2-line block ×14, first 2 shown]
	v_pk_add_f32 v[0:1], v[60:61], v[0:1]
	v_pk_add_f32 v[8:9], v[150:151], v[8:9]
	v_mov_b32_e32 v155, v157
	v_pk_add_f32 v[10:11], v[124:125], v[10:11]
	v_mov_b32_e32 v129, v131
	;; [unrolled: 2-line block ×4, first 2 shown]
	v_pk_add_f32 v[8:9], v[154:155], v[8:9]
	v_pk_add_f32 v[10:11], v[128:129], v[10:11]
	;; [unrolled: 1-line block ×4, first 2 shown]
	ds_write2_b64 v43, v[8:9], v[10:11] offset0:8 offset1:9
	ds_write2_b64 v43, v[6:7], v[0:1] offset0:10 offset1:11
	ds_write_b64 v43, v[14:15] offset:96
	s_waitcnt lgkmcnt(0)
	; wave barrier
	s_waitcnt lgkmcnt(0)
	ds_read2_b64 v[0:3], v35 offset0:208 offset1:240
	v_lshl_add_u32 v56, v34, 3, v104
	v_lshl_add_u32 v55, v44, 3, v104
	ds_read2_b64 v[4:7], v41 offset0:16 offset1:48
	v_lshl_add_u32 v54, v42, 3, v104
	ds_read_b64 v[16:17], v37
	ds_read_b64 v[48:49], v56
	;; [unrolled: 1-line block ×4, first 2 shown]
	v_lshl_add_u32 v53, v40, 3, v104
	ds_read2_b64 v[8:11], v41 offset0:80 offset1:112
	v_lshl_add_u32 v52, v38, 3, v104
	ds_read_b64 v[22:23], v53
	ds_read_b64 v[50:51], v52
	v_cmp_gt_u32_e64 s[0:1], 16, v32
                                        ; implicit-def: $vgpr20
                                        ; implicit-def: $vgpr12
	s_and_saveexec_b64 s[4:5], s[0:1]
	s_cbranch_execz .LBB0_15
; %bb.14:
	v_lshlrev_b32_e32 v12, 3, v36
	v_add3_u32 v14, 0, v12, v39
	ds_read_b64 v[12:13], v35 offset:3200
	ds_read_b64 v[14:15], v14
	s_waitcnt lgkmcnt(1)
	v_mov_b32_e32 v20, v13
.LBB0_15:
	s_or_b64 exec, exec, s[4:5]
	s_movk_i32 s4, 0x4f
	v_mul_lo_u16_sdwa v26, v44, s4 dst_sel:DWORD dst_unused:UNUSED_PAD src0_sel:BYTE_0 src1_sel:DWORD
	v_lshrrev_b16_e32 v57, 10, v26
	v_mul_lo_u16_e32 v26, 13, v57
	v_sub_u16_e32 v62, v44, v26
	v_mul_lo_u16_sdwa v26, v42, s4 dst_sel:DWORD dst_unused:UNUSED_PAD src0_sel:BYTE_0 src1_sel:DWORD
	v_lshrrev_b16_e32 v70, 10, v26
	v_mul_lo_u16_sdwa v13, v32, s4 dst_sel:DWORD dst_unused:UNUSED_PAD src0_sel:BYTE_0 src1_sel:DWORD
	v_mul_lo_u16_e32 v26, 13, v70
	v_mul_lo_u16_sdwa v27, v38, s4 dst_sel:DWORD dst_unused:UNUSED_PAD src0_sel:BYTE_0 src1_sel:DWORD
	v_lshrrev_b16_e32 v13, 10, v13
	v_sub_u16_e32 v63, v42, v26
	v_mul_lo_u16_sdwa v26, v40, s4 dst_sel:DWORD dst_unused:UNUSED_PAD src0_sel:BYTE_0 src1_sel:DWORD
	v_lshrrev_b16_e32 v83, 10, v27
	v_mul_lo_u16_sdwa v41, v36, s4 dst_sel:DWORD dst_unused:UNUSED_PAD src0_sel:BYTE_0 src1_sel:DWORD
	v_mul_lo_u16_e32 v21, 13, v13
	v_lshrrev_b16_e32 v82, 10, v26
	v_mul_lo_u16_e32 v27, 13, v83
	v_lshrrev_b16_e32 v41, 10, v41
	v_sub_u16_e32 v21, v32, v21
	v_mov_b32_e32 v45, 3
	v_mul_lo_u16_e32 v26, 13, v82
	v_sub_u16_e32 v27, v38, v27
	v_mul_lo_u16_e32 v43, 13, v41
	v_lshlrev_b32_sdwa v21, v45, v21 dst_sel:DWORD dst_unused:UNUSED_PAD src0_sel:DWORD src1_sel:BYTE_0
	v_sub_u16_e32 v26, v40, v26
	v_sub_u16_e32 v43, v36, v43
	v_lshlrev_b32_sdwa v85, v45, v27 dst_sel:DWORD dst_unused:UNUSED_PAD src0_sel:DWORD src1_sel:BYTE_0
	v_mul_lo_u16_sdwa v66, v34, s4 dst_sel:DWORD dst_unused:UNUSED_PAD src0_sel:BYTE_0 src1_sel:DWORD
	global_load_dwordx2 v[24:25], v21, s[8:9]
	v_lshlrev_b32_sdwa v43, v45, v43 dst_sel:DWORD dst_unused:UNUSED_PAD src0_sel:DWORD src1_sel:BYTE_0
	v_lshlrev_b32_sdwa v84, v45, v26 dst_sel:DWORD dst_unused:UNUSED_PAD src0_sel:DWORD src1_sel:BYTE_0
	global_load_dwordx2 v[26:27], v85, s[8:9]
	global_load_dwordx2 v[58:59], v84, s[8:9]
	;; [unrolled: 1-line block ×3, first 2 shown]
	v_lshlrev_b32_sdwa v72, v45, v63 dst_sel:DWORD dst_unused:UNUSED_PAD src0_sel:DWORD src1_sel:BYTE_0
	v_lshrrev_b16_e32 v73, 10, v66
	v_lshlrev_b32_sdwa v71, v45, v62 dst_sel:DWORD dst_unused:UNUSED_PAD src0_sel:DWORD src1_sel:BYTE_0
	global_load_dwordx2 v[62:63], v72, s[8:9]
	global_load_dwordx2 v[64:65], v71, s[8:9]
	v_mul_lo_u16_e32 v66, 13, v73
	v_sub_u16_e32 v66, v34, v66
	v_lshlrev_b32_sdwa v45, v45, v66 dst_sel:DWORD dst_unused:UNUSED_PAD src0_sel:DWORD src1_sel:BYTE_0
	global_load_dwordx2 v[66:67], v45, s[8:9]
	s_movk_i32 s10, 0xd0
	s_waitcnt lgkmcnt(8)
	v_mov_b32_e32 v68, v1
	v_mov_b32_e32 v69, v0
	v_mad_u32_u24 v1, v13, s10, 0
	v_mad_u32_u24 v70, v70, s10, 0
	;; [unrolled: 1-line block ×4, first 2 shown]
	v_add3_u32 v86, v1, v21, v39
	v_add3_u32 v87, v70, v72, v39
	;; [unrolled: 1-line block ×4, first 2 shown]
	s_waitcnt lgkmcnt(0)
	; wave barrier
	s_waitcnt vmcnt(6) lgkmcnt(0)
	v_mov_b32_e32 v70, v25
	v_pk_mul_f32 v[72:73], v[24:25], v[68:69]
	s_waitcnt vmcnt(4)
	v_pk_mul_f32 v[74:75], v[58:59], v[8:9] op_sel:[0,1]
	v_pk_mul_f32 v[76:77], v[26:27], v[10:11] op_sel:[0,1]
	s_waitcnt vmcnt(3)
	v_pk_mul_f32 v[20:21], v[20:21], v[60:61] op_sel_hi:[0,1]
	v_pk_mul_f32 v[70:71], v[70:71], v[68:69]
	s_waitcnt vmcnt(2)
	v_pk_mul_f32 v[78:79], v[62:63], v[6:7] op_sel:[0,1]
	s_waitcnt vmcnt(1)
	v_pk_mul_f32 v[80:81], v[64:65], v[4:5] op_sel:[0,1]
	v_mov_b32_e32 v1, v72
	v_pk_fma_f32 v[72:73], v[58:59], v[8:9], v[74:75] op_sel:[0,0,1] op_sel_hi:[1,0,0] neg_lo:[1,0,0] neg_hi:[1,0,0]
	v_pk_fma_f32 v[8:9], v[58:59], v[8:9], v[74:75] op_sel:[0,0,1] op_sel_hi:[1,0,0]
	v_pk_fma_f32 v[58:59], v[26:27], v[10:11], v[76:77] op_sel:[0,0,1] op_sel_hi:[1,0,0] neg_lo:[1,0,0] neg_hi:[1,0,0]
	v_pk_fma_f32 v[10:11], v[26:27], v[10:11], v[76:77] op_sel:[0,0,1] op_sel_hi:[1,0,0]
	;; [unrolled: 2-line block ×3, first 2 shown]
	v_pk_fma_f32 v[60:61], v[62:63], v[6:7], v[78:79] op_sel:[0,0,1] op_sel_hi:[1,1,0]
	v_pk_fma_f32 v[6:7], v[62:63], v[6:7], v[78:79] op_sel:[0,0,1] op_sel_hi:[1,0,0] neg_lo:[1,0,0] neg_hi:[1,0,0]
	v_pk_fma_f32 v[62:63], v[64:65], v[4:5], v[80:81] op_sel:[0,0,1] op_sel_hi:[1,1,0]
	v_pk_fma_f32 v[4:5], v[64:65], v[4:5], v[80:81] op_sel:[0,0,1] op_sel_hi:[1,0,0] neg_lo:[1,0,0] neg_hi:[1,0,0]
	v_pk_fma_f32 v[64:65], v[24:25], v[0:1], v[70:71] op_sel_hi:[1,0,1]
	v_pk_fma_f32 v[0:1], v[24:25], v[68:69], v[0:1] neg_lo:[1,0,0] neg_hi:[1,0,0]
	v_mov_b32_e32 v9, v73
	v_mov_b32_e32 v13, v27
	;; [unrolled: 1-line block ×5, first 2 shown]
	v_pk_add_f32 v[4:5], v[22:23], v[8:9] neg_lo:[0,1] neg_hi:[0,1]
	v_pk_add_f32 v[12:13], v[14:15], v[12:13] neg_lo:[0,1] neg_hi:[0,1]
	v_mov_b32_e32 v11, v59
	v_pk_add_f32 v[24:25], v[46:47], v[60:61] neg_lo:[0,1] neg_hi:[0,1]
	v_pk_add_f32 v[0:1], v[16:17], v[64:65] neg_lo:[0,1] neg_hi:[0,1]
	v_pk_fma_f32 v[26:27], v[22:23], 2.0, v[4:5] op_sel_hi:[1,0,1] neg_lo:[0,0,1] neg_hi:[0,0,1]
	v_pk_fma_f32 v[22:23], v[14:15], 2.0, v[12:13] op_sel_hi:[1,0,1] neg_lo:[0,0,1] neg_hi:[0,0,1]
	s_waitcnt vmcnt(0)
	v_pk_mul_f32 v[14:15], v[66:67], v[2:3] op_sel:[0,1]
	v_pk_add_f32 v[20:21], v[50:51], v[10:11] neg_lo:[0,1] neg_hi:[0,1]
	v_pk_fma_f32 v[10:11], v[46:47], 2.0, v[24:25] op_sel_hi:[1,0,1] neg_lo:[0,0,1] neg_hi:[0,0,1]
	v_pk_fma_f32 v[46:47], v[16:17], 2.0, v[0:1] op_sel_hi:[1,0,1] neg_lo:[0,0,1] neg_hi:[0,0,1]
	v_pk_fma_f32 v[16:17], v[66:67], v[2:3], v[14:15] op_sel:[0,0,1] op_sel_hi:[1,1,0]
	v_pk_fma_f32 v[2:3], v[66:67], v[2:3], v[14:15] op_sel:[0,0,1] op_sel_hi:[1,0,0] neg_lo:[1,0,0] neg_hi:[1,0,0]
	v_mad_u32_u24 v14, v82, s10, 0
	v_mov_b32_e32 v17, v3
	v_pk_add_f32 v[8:9], v[18:19], v[62:63] neg_lo:[0,1] neg_hi:[0,1]
	v_pk_add_f32 v[16:17], v[48:49], v[16:17] neg_lo:[0,1] neg_hi:[0,1]
	v_add3_u32 v14, v14, v84, v39
	v_pk_fma_f32 v[18:19], v[18:19], 2.0, v[8:9] op_sel_hi:[1,0,1] neg_lo:[0,0,1] neg_hi:[0,0,1]
	v_pk_fma_f32 v[2:3], v[48:49], 2.0, v[16:17] op_sel_hi:[1,0,1] neg_lo:[0,0,1] neg_hi:[0,0,1]
	ds_write2_b64 v86, v[46:47], v[0:1] offset1:13
	ds_write2_b64 v45, v[2:3], v[16:17] offset1:13
	;; [unrolled: 1-line block ×5, first 2 shown]
	v_mad_u32_u24 v14, v83, s10, 0
	v_pk_fma_f32 v[6:7], v[50:51], 2.0, v[20:21] op_sel_hi:[1,0,1] neg_lo:[0,0,1] neg_hi:[0,0,1]
	v_add3_u32 v14, v14, v85, v39
	ds_write2_b64 v14, v[6:7], v[20:21] offset1:13
	s_and_saveexec_b64 s[4:5], s[0:1]
	s_cbranch_execz .LBB0_17
; %bb.16:
	v_mad_u32_u24 v14, v41, s10, 0
	v_add3_u32 v14, v14, v43, v39
	ds_write2_b64 v14, v[22:23], v[12:13] offset1:13
.LBB0_17:
	s_or_b64 exec, exec, s[4:5]
	v_cmp_gt_u32_e64 s[0:1], 26, v32
	s_waitcnt lgkmcnt(0)
	; wave barrier
	s_waitcnt lgkmcnt(0)
                                        ; implicit-def: $vgpr48
	s_and_saveexec_b64 s[4:5], s[0:1]
	s_cbranch_execz .LBB0_19
; %bb.18:
	v_add_u32_e32 v4, 0x400, v35
	v_add_u32_e32 v12, 0x800, v35
	ds_read2_b64 v[0:3], v35 offset0:26 offset1:52
	ds_read2_b64 v[16:19], v35 offset0:78 offset1:104
	;; [unrolled: 1-line block ×7, first 2 shown]
	ds_read_b64 v[46:47], v37
	ds_read_b64 v[48:49], v35 offset:3120
.LBB0_19:
	s_or_b64 exec, exec, s[4:5]
	s_waitcnt lgkmcnt(0)
	; wave barrier
	s_waitcnt lgkmcnt(0)
	s_and_saveexec_b64 s[4:5], s[0:1]
	s_cbranch_execz .LBB0_21
; %bb.20:
	v_subrev_u32_e32 v39, 26, v32
	v_cndmask_b32_e64 v39, v39, v32, s[0:1]
	v_mul_i32_i24_e32 v50, 15, v39
	v_mov_b32_e32 v51, 0
	v_lshl_add_u64 v[50:51], v[50:51], 3, s[8:9]
	global_load_dwordx4 v[58:61], v[50:51], off offset:104
	global_load_dwordx4 v[62:65], v[50:51], off offset:168
	;; [unrolled: 1-line block ×7, first 2 shown]
	global_load_dwordx2 v[86:87], v[50:51], off offset:216
	v_mov_b32_e32 v50, v3
	v_mov_b32_e32 v88, v11
	;; [unrolled: 1-line block ×9, first 2 shown]
	s_mov_b32 s0, 0x3f3504f3
	s_mov_b32 s10, 0x3ec3ef15
	s_mov_b32 s12, 0x3f6c835e
	s_waitcnt vmcnt(7)
	v_pk_mul_f32 v[50:51], v[50:51], v[60:61] op_sel_hi:[0,1]
	s_waitcnt vmcnt(6)
	v_pk_mul_f32 v[106:107], v[6:7], v[64:65] op_sel:[1,0]
	s_waitcnt vmcnt(5)
	v_pk_mul_f32 v[88:89], v[88:89], v[68:69] op_sel_hi:[0,1]
	s_waitcnt vmcnt(4)
	v_pk_mul_f32 v[90:91], v[90:91], v[72:73] op_sel_hi:[0,1]
	s_waitcnt vmcnt(3)
	v_pk_mul_f32 v[108:109], v[26:27], v[76:77] op_sel:[1,0]
	s_waitcnt vmcnt(2)
	v_pk_mul_f32 v[92:93], v[92:93], v[80:81] op_sel_hi:[0,1]
	s_waitcnt vmcnt(1)
	v_pk_mul_f32 v[110:111], v[22:23], v[84:85] op_sel:[1,0]
	v_pk_mul_f32 v[94:95], v[94:95], v[78:79] op_sel_hi:[0,1]
	v_pk_mul_f32 v[112:113], v[20:21], v[82:83] op_sel:[1,0]
	v_pk_mul_f32 v[96:97], v[96:97], v[74:75] op_sel_hi:[0,1]
	s_waitcnt vmcnt(0)
	v_pk_mul_f32 v[98:99], v[98:99], v[86:87] op_sel_hi:[0,1]
	v_pk_mul_f32 v[100:101], v[100:101], v[58:59] op_sel_hi:[0,1]
	v_pk_mul_f32 v[114:115], v[4:5], v[62:63] op_sel:[1,0]
	v_pk_mul_f32 v[102:103], v[102:103], v[66:67] op_sel_hi:[0,1]
	v_pk_mul_f32 v[116:117], v[12:13], v[70:71] op_sel:[1,0]
	v_pk_fma_f32 v[118:119], v[10:11], v[68:69], v[88:89] op_sel:[0,0,1] op_sel_hi:[1,1,0]
	v_pk_fma_f32 v[10:11], v[10:11], v[68:69], v[88:89] op_sel:[0,0,1] op_sel_hi:[0,1,0] neg_lo:[1,0,0] neg_hi:[1,0,0]
	v_pk_fma_f32 v[68:69], v[14:15], v[72:73], v[90:91] op_sel:[0,0,1] op_sel_hi:[1,1,0]
	v_pk_fma_f32 v[14:15], v[14:15], v[72:73], v[90:91] op_sel:[0,0,1] op_sel_hi:[0,1,0] neg_lo:[1,0,0] neg_hi:[1,0,0]
	;; [unrolled: 2-line block ×15, first 2 shown]
	v_mov_b32_e32 v119, v11
	v_mov_b32_e32 v69, v15
	;; [unrolled: 1-line block ×15, first 2 shown]
	v_pk_add_f32 v[0:1], v[118:119], v[68:69] neg_lo:[0,1] neg_hi:[0,1]
	v_pk_add_f32 v[2:3], v[72:73], v[50:51] neg_lo:[0,1] neg_hi:[0,1]
	;; [unrolled: 1-line block ×8, first 2 shown]
	v_pk_fma_f32 v[16:17], v[72:73], 2.0, v[2:3] op_sel_hi:[1,0,1] neg_lo:[0,0,1] neg_hi:[0,0,1]
	v_pk_fma_f32 v[18:19], v[118:119], 2.0, v[0:1] op_sel_hi:[1,0,1] neg_lo:[0,0,1] neg_hi:[0,0,1]
	v_pk_fma_f32 v[20:21], v[46:47], 2.0, v[8:9] op_sel_hi:[1,0,1] neg_lo:[0,0,1] neg_hi:[0,0,1]
	v_pk_fma_f32 v[22:23], v[60:61], 2.0, v[6:7] op_sel_hi:[1,0,1] neg_lo:[0,0,1] neg_hi:[0,0,1]
	v_pk_fma_f32 v[24:25], v[84:85], 2.0, v[12:13] op_sel_hi:[1,0,1] neg_lo:[0,0,1] neg_hi:[0,0,1]
	v_pk_fma_f32 v[26:27], v[76:77], 2.0, v[10:11] op_sel_hi:[1,0,1] neg_lo:[0,0,1] neg_hi:[0,0,1]
	v_pk_fma_f32 v[46:47], v[70:71], 2.0, v[4:5] op_sel_hi:[1,0,1] neg_lo:[0,0,1] neg_hi:[0,0,1]
	v_pk_fma_f32 v[48:49], v[82:83], 2.0, v[14:15] op_sel_hi:[1,0,1] neg_lo:[0,0,1] neg_hi:[0,0,1]
	v_pk_add_f32 v[18:19], v[16:17], v[18:19] neg_lo:[0,1] neg_hi:[0,1]
	v_pk_add_f32 v[22:23], v[20:21], v[22:23] neg_lo:[0,1] neg_hi:[0,1]
	;; [unrolled: 1-line block ×4, first 2 shown]
	v_pk_fma_f32 v[20:21], v[20:21], 2.0, v[22:23] op_sel_hi:[1,0,1] neg_lo:[0,0,1] neg_hi:[0,0,1]
	v_pk_fma_f32 v[16:17], v[16:17], 2.0, v[18:19] op_sel_hi:[1,0,1] neg_lo:[0,0,1] neg_hi:[0,0,1]
	;; [unrolled: 1-line block ×4, first 2 shown]
	v_pk_add_f32 v[16:17], v[20:21], v[16:17] neg_lo:[0,1] neg_hi:[0,1]
	v_pk_add_f32 v[24:25], v[46:47], v[24:25] neg_lo:[0,1] neg_hi:[0,1]
	v_pk_fma_f32 v[20:21], v[20:21], 2.0, v[16:17] op_sel_hi:[1,0,1] neg_lo:[0,0,1] neg_hi:[0,0,1]
	v_pk_fma_f32 v[46:47], v[46:47], 2.0, v[24:25] op_sel_hi:[1,0,1] neg_lo:[0,0,1] neg_hi:[0,0,1]
	s_nop 0
	v_pk_add_f32 v[46:47], v[20:21], v[46:47] neg_lo:[0,1] neg_hi:[0,1]
	s_nop 0
	v_pk_fma_f32 v[20:21], v[20:21], 2.0, v[46:47] op_sel_hi:[1,0,1] neg_lo:[0,0,1] neg_hi:[0,0,1]
	ds_write_b64 v37, v[20:21]
	v_pk_add_f32 v[20:21], v[2:3], v[0:1] op_sel:[0,1] op_sel_hi:[1,0]
	v_pk_add_f32 v[0:1], v[2:3], v[0:1] op_sel:[0,1] op_sel_hi:[1,0] neg_lo:[0,1] neg_hi:[0,1]
	s_nop 0
	v_mov_b32_e32 v21, v1
	v_pk_add_f32 v[0:1], v[8:9], v[6:7] op_sel:[0,1] op_sel_hi:[1,0]
	v_pk_add_f32 v[6:7], v[8:9], v[6:7] op_sel:[0,1] op_sel_hi:[1,0] neg_lo:[0,1] neg_hi:[0,1]
	v_pk_fma_f32 v[2:3], v[2:3], 2.0, v[20:21] op_sel_hi:[1,0,1] neg_lo:[0,0,1] neg_hi:[0,0,1]
	v_mov_b32_e32 v1, v7
	v_pk_add_f32 v[6:7], v[12:13], v[10:11] op_sel:[0,1] op_sel_hi:[1,0]
	v_pk_add_f32 v[10:11], v[12:13], v[10:11] op_sel:[0,1] op_sel_hi:[1,0] neg_lo:[0,1] neg_hi:[0,1]
	v_pk_fma_f32 v[8:9], v[8:9], 2.0, v[0:1] op_sel_hi:[1,0,1] neg_lo:[0,0,1] neg_hi:[0,0,1]
	v_mov_b32_e32 v7, v11
	v_pk_add_f32 v[10:11], v[4:5], v[14:15] op_sel:[0,1] op_sel_hi:[1,0]
	v_pk_add_f32 v[14:15], v[4:5], v[14:15] op_sel:[0,1] op_sel_hi:[1,0] neg_lo:[0,1] neg_hi:[0,1]
	v_pk_fma_f32 v[12:13], v[12:13], 2.0, v[6:7] op_sel_hi:[1,0,1] neg_lo:[0,0,1] neg_hi:[0,0,1]
	v_mov_b32_e32 v11, v15
	v_pk_mul_f32 v[14:15], v[2:3], s[0:1] op_sel_hi:[1,0]
	v_pk_fma_f32 v[2:3], v[2:3], s[0:1], v[8:9] op_sel_hi:[1,0,1] neg_lo:[1,0,0] neg_hi:[1,0,0]
	v_pk_fma_f32 v[4:5], v[4:5], 2.0, v[10:11] op_sel_hi:[1,0,1] neg_lo:[0,0,1] neg_hi:[0,0,1]
	v_pk_add_f32 v[50:51], v[2:3], v[14:15] op_sel:[0,1] op_sel_hi:[1,0]
	v_pk_add_f32 v[2:3], v[2:3], v[14:15] op_sel:[0,1] op_sel_hi:[1,0] neg_lo:[0,1] neg_hi:[0,1]
	v_pk_mul_f32 v[14:15], v[12:13], s[0:1] op_sel_hi:[1,0]
	v_pk_fma_f32 v[12:13], v[12:13], s[0:1], v[4:5] op_sel_hi:[1,0,1] neg_lo:[1,0,0] neg_hi:[1,0,0]
	v_mov_b32_e32 v51, v3
	v_pk_add_f32 v[58:59], v[12:13], v[14:15] op_sel:[0,1] op_sel_hi:[1,0]
	v_pk_add_f32 v[12:13], v[12:13], v[14:15] op_sel:[0,1] op_sel_hi:[1,0] neg_lo:[0,1] neg_hi:[0,1]
	v_fmamk_f32 v14, v58, 0x3ec3ef15, v50
	v_mov_b32_e32 v59, v13
	v_pk_fma_f32 v[4:5], v[4:5], 2.0, v[58:59] op_sel_hi:[1,0,1] neg_lo:[0,0,1] neg_hi:[0,0,1]
	v_pk_fma_f32 v[8:9], v[8:9], 2.0, v[50:51] op_sel_hi:[1,0,1] neg_lo:[0,0,1] neg_hi:[0,0,1]
	v_fmamk_f32 v2, v13, 0x3ec3ef15, v3
	v_fmac_f32_e32 v14, 0x3f6c835e, v13
	v_pk_mul_f32 v[12:13], v[4:5], s[10:11] op_sel_hi:[1,0]
	v_pk_fma_f32 v[4:5], v[4:5], s[12:13], v[8:9] op_sel_hi:[1,0,1] neg_lo:[1,0,0] neg_hi:[1,0,0]
	v_fmamk_f32 v15, v58, 0xbf6c835e, v2
	v_fma_f32 v2, v50, 2.0, -v14
	v_pk_add_f32 v[50:51], v[4:5], v[12:13] op_sel:[0,1] op_sel_hi:[1,0]
	v_pk_add_f32 v[4:5], v[4:5], v[12:13] op_sel:[0,1] op_sel_hi:[1,0] neg_lo:[0,1] neg_hi:[0,1]
	v_pk_add_f32 v[12:13], v[22:23], v[18:19] op_sel:[0,1] op_sel_hi:[1,0] neg_lo:[0,1] neg_hi:[0,1]
	v_mov_b32_e32 v51, v5
	v_pk_fma_f32 v[4:5], v[8:9], 2.0, v[50:51] op_sel_hi:[1,0,1] neg_lo:[0,0,1] neg_hi:[0,0,1]
	v_pk_add_f32 v[8:9], v[22:23], v[18:19] op_sel:[0,1] op_sel_hi:[1,0]
	v_pk_add_f32 v[18:19], v[48:49], v[26:27] op_sel:[0,1] op_sel_hi:[1,0] neg_lo:[0,1] neg_hi:[0,1]
	v_mov_b32_e32 v9, v13
	v_pk_add_f32 v[12:13], v[48:49], v[26:27] op_sel:[0,1] op_sel_hi:[1,0]
	v_pk_fma_f32 v[22:23], v[22:23], 2.0, v[8:9] op_sel_hi:[1,0,1] neg_lo:[0,0,1] neg_hi:[0,0,1]
	v_mov_b32_e32 v13, v19
	v_pk_fma_f32 v[18:19], v[48:49], 2.0, v[12:13] op_sel_hi:[1,0,1] neg_lo:[0,0,1] neg_hi:[0,0,1]
	v_fma_f32 v3, v3, 2.0, -v15
	v_pk_mul_f32 v[26:27], v[18:19], s[0:1] op_sel_hi:[1,0]
	v_pk_fma_f32 v[18:19], v[18:19], s[0:1], v[22:23] op_sel_hi:[1,0,1] neg_lo:[1,0,0] neg_hi:[1,0,0]
	s_nop 0
	v_pk_add_f32 v[48:49], v[18:19], v[26:27] op_sel:[0,1] op_sel_hi:[1,0]
	v_pk_add_f32 v[18:19], v[18:19], v[26:27] op_sel:[0,1] op_sel_hi:[1,0] neg_lo:[0,1] neg_hi:[0,1]
	s_nop 0
	v_mov_b32_e32 v49, v19
	v_pk_fma_f32 v[18:19], v[22:23], 2.0, v[48:49] op_sel_hi:[1,0,1] neg_lo:[0,0,1] neg_hi:[0,0,1]
	ds_write2_b64 v35, v[4:5], v[18:19] offset0:26 offset1:52
	v_pk_mul_f32 v[4:5], v[20:21], s[0:1] op_sel_hi:[1,0]
	v_pk_fma_f32 v[18:19], v[20:21], s[0:1], v[0:1] op_sel_hi:[1,0,1]
	s_nop 0
	v_pk_add_f32 v[20:21], v[18:19], v[4:5] op_sel:[0,1] op_sel_hi:[1,0]
	v_pk_add_f32 v[4:5], v[18:19], v[4:5] op_sel:[0,1] op_sel_hi:[1,0] neg_lo:[0,1] neg_hi:[0,1]
	v_pk_mul_f32 v[18:19], v[6:7], s[0:1] op_sel_hi:[1,0]
	v_pk_fma_f32 v[6:7], v[6:7], s[0:1], v[10:11] op_sel_hi:[1,0,1]
	v_mov_b32_e32 v21, v5
	v_pk_add_f32 v[22:23], v[6:7], v[18:19] op_sel:[0,1] op_sel_hi:[1,0]
	v_pk_add_f32 v[6:7], v[6:7], v[18:19] op_sel:[0,1] op_sel_hi:[1,0] neg_lo:[0,1] neg_hi:[0,1]
	v_fmamk_f32 v18, v22, 0x3f6c835e, v20
	v_mov_b32_e32 v23, v7
	v_fmamk_f32 v4, v7, 0x3f6c835e, v5
	v_fmac_f32_e32 v18, 0x3ec3ef15, v7
	v_pk_fma_f32 v[6:7], v[10:11], 2.0, v[22:23] op_sel_hi:[1,0,1] neg_lo:[0,0,1] neg_hi:[0,0,1]
	v_pk_fma_f32 v[0:1], v[0:1], 2.0, v[20:21] op_sel_hi:[1,0,1] neg_lo:[0,0,1] neg_hi:[0,0,1]
	v_pk_mul_f32 v[10:11], v[6:7], s[12:13] op_sel_hi:[1,0]
	v_pk_fma_f32 v[6:7], v[6:7], s[10:11], v[0:1] op_sel_hi:[1,0,1] neg_lo:[1,0,0] neg_hi:[1,0,0]
	v_fmamk_f32 v19, v22, 0xbec3ef15, v4
	v_fma_f32 v4, v20, 2.0, -v18
	v_pk_add_f32 v[20:21], v[6:7], v[10:11] op_sel:[0,1] op_sel_hi:[1,0]
	v_pk_add_f32 v[6:7], v[6:7], v[10:11] op_sel:[0,1] op_sel_hi:[1,0] neg_lo:[0,1] neg_hi:[0,1]
	v_pk_add_f32 v[10:11], v[16:17], v[24:25] op_sel:[0,1] op_sel_hi:[1,0] neg_lo:[0,1] neg_hi:[0,1]
	v_mov_b32_e32 v21, v7
	v_pk_add_f32 v[6:7], v[16:17], v[24:25] op_sel:[0,1] op_sel_hi:[1,0]
	v_pk_fma_f32 v[0:1], v[0:1], 2.0, v[20:21] op_sel_hi:[1,0,1] neg_lo:[0,0,1] neg_hi:[0,0,1]
	v_mov_b32_e32 v7, v11
	v_pk_fma_f32 v[10:11], v[16:17], 2.0, v[6:7] op_sel_hi:[1,0,1] neg_lo:[0,0,1] neg_hi:[0,0,1]
	ds_write2_b64 v35, v[0:1], v[10:11] offset0:78 offset1:104
	v_pk_mul_f32 v[0:1], v[12:13], s[0:1] op_sel_hi:[1,0]
	v_pk_fma_f32 v[10:11], v[12:13], s[0:1], v[8:9] op_sel_hi:[1,0,1]
	v_fma_f32 v5, v5, 2.0, -v19
	v_pk_add_f32 v[12:13], v[10:11], v[0:1] op_sel:[0,1] op_sel_hi:[1,0]
	v_pk_add_f32 v[0:1], v[10:11], v[0:1] op_sel:[0,1] op_sel_hi:[1,0] neg_lo:[0,1] neg_hi:[0,1]
	s_nop 0
	v_mov_b32_e32 v13, v1
	v_pk_fma_f32 v[0:1], v[8:9], 2.0, v[12:13] op_sel_hi:[1,0,1] neg_lo:[0,0,1] neg_hi:[0,0,1]
	ds_write2_b64 v35, v[2:3], v[0:1] offset0:130 offset1:156
	ds_write2_b64 v35, v[4:5], v[46:47] offset0:182 offset1:208
	v_add_u32_e32 v0, 0x400, v35
	ds_write2_b64 v0, v[50:51], v[48:49] offset0:106 offset1:132
	v_add_u32_e32 v0, 0x800, v35
	ds_write2_b64 v0, v[20:21], v[6:7] offset0:30 offset1:56
	ds_write2_b64 v0, v[14:15], v[12:13] offset0:82 offset1:108
	ds_write_b64 v35, v[18:19] offset:3120
.LBB0_21:
	s_or_b64 exec, exec, s[4:5]
	s_waitcnt lgkmcnt(0)
	; wave barrier
	s_waitcnt lgkmcnt(0)
	ds_read_b64 v[4:5], v37
	v_sub_u32_e32 v6, v104, v33
	v_cmp_ne_u32_e64 s[0:1], 0, v32
                                        ; implicit-def: $vgpr2_vgpr3
                                        ; implicit-def: $vgpr1
	s_and_saveexec_b64 s[4:5], s[0:1]
	s_xor_b64 s[0:1], exec, s[4:5]
	s_cbranch_execz .LBB0_23
; %bb.22:
	v_mov_b32_e32 v33, 0
	v_lshl_add_u64 v[0:1], v[32:33], 3, s[8:9]
	global_load_dwordx2 v[2:3], v[0:1], off offset:3224
	ds_read_b64 v[0:1], v6 offset:3328
	v_mov_b32_e32 v9, 0.5
	v_mov_b32_e32 v10, v9
	s_waitcnt lgkmcnt(0)
	v_pk_add_f32 v[12:13], v[0:1], v[4:5]
	v_pk_add_f32 v[0:1], v[4:5], v[0:1] neg_lo:[0,1] neg_hi:[0,1]
	v_mov_b32_e32 v4, v13
	v_mov_b32_e32 v5, v0
	v_pk_mul_f32 v[4:5], v[4:5], 0.5 op_sel_hi:[1,0]
	s_waitcnt vmcnt(0)
	v_mov_b32_e32 v8, v3
	v_mov_b32_e32 v0, v5
	v_mov_b32_e32 v13, v4
	v_mov_b32_e32 v11, v3
	v_pk_mul_f32 v[0:1], v[8:9], v[0:1]
	v_pk_mul_f32 v[14:15], v[2:3], v[4:5] op_sel_hi:[0,1]
	v_pk_fma_f32 v[8:9], v[12:13], v[10:11], v[0:1]
	v_pk_fma_f32 v[10:11], v[12:13], v[10:11], v[0:1] neg_lo:[0,0,1] neg_hi:[0,0,1]
	v_add_f32_e32 v0, v14, v8
	v_sub_f32_e32 v1, v9, v15
	ds_write_b32 v37, v0
	v_pk_fma_f32 v[2:3], v[2:3], v[4:5], v[10:11] op_sel_hi:[0,1,1] neg_lo:[1,0,0] neg_hi:[1,0,0]
                                        ; implicit-def: $vgpr4_vgpr5
.LBB0_23:
	s_andn2_saveexec_b64 s[0:1], s[0:1]
	s_cbranch_execz .LBB0_25
; %bb.24:
	ds_read_b32 v2, v104 offset:1668
	s_waitcnt lgkmcnt(1)
	v_mov_b32_e32 v0, v5
	v_add_f32_e32 v1, v5, v4
	ds_write_b32 v37, v1
	v_pk_add_f32 v[0:1], v[4:5], v[0:1] neg_lo:[0,1] neg_hi:[0,1]
	s_waitcnt lgkmcnt(1)
	v_xor_b32_e32 v1, 0x80000000, v2
	ds_write_b32 v104, v1 offset:1668
	v_mov_b32_e32 v1, 0
	v_mov_b64_e32 v[2:3], v[0:1]
.LBB0_25:
	s_or_b64 exec, exec, s[0:1]
	v_mov_b32_e32 v35, 0
	s_waitcnt lgkmcnt(0)
	v_lshl_add_u64 v[4:5], v[34:35], 3, s[8:9]
	global_load_dwordx2 v[4:5], v[4:5], off offset:3224
	v_mov_b32_e32 v45, v35
	v_lshl_add_u64 v[8:9], v[44:45], 3, s[8:9]
	global_load_dwordx2 v[8:9], v[8:9], off offset:3224
	v_mov_b32_e32 v43, v35
	;; [unrolled: 3-line block ×4, first 2 shown]
	ds_write_b32 v37, v1 offset:4
	ds_write_b64 v6, v[2:3] offset:3328
	v_lshl_add_u64 v[18:19], v[38:39], 3, s[8:9]
	ds_read_b64 v[2:3], v56
	ds_read_b64 v[14:15], v6 offset:3072
	global_load_dwordx2 v[18:19], v[18:19], off offset:3224
	v_mov_b32_e32 v1, 0.5
	v_mov_b32_e32 v16, v1
	s_movk_i32 s0, 0xd0
	s_waitcnt lgkmcnt(0)
	v_pk_add_f32 v[20:21], v[2:3], v[14:15]
	v_pk_add_f32 v[2:3], v[2:3], v[14:15] neg_lo:[0,1] neg_hi:[0,1]
	v_mov_b32_e32 v14, v21
	v_mov_b32_e32 v15, v2
	v_pk_mul_f32 v[14:15], v[14:15], 0.5 op_sel_hi:[1,0]
	v_cmp_gt_u32_e64 s[0:1], s0, v36
	v_mov_b32_e32 v2, v15
	v_mov_b32_e32 v21, v14
	s_waitcnt vmcnt(4)
	v_mov_b32_e32 v0, v5
	v_mov_b32_e32 v17, v5
	v_pk_mul_f32 v[2:3], v[0:1], v[2:3]
	s_waitcnt vmcnt(3)
	v_mov_b32_e32 v0, v9
	v_pk_fma_f32 v[22:23], v[20:21], v[16:17], v[2:3]
	v_pk_fma_f32 v[2:3], v[20:21], v[16:17], v[2:3] neg_lo:[0,0,1] neg_hi:[0,0,1]
	v_pk_fma_f32 v[16:17], v[4:5], v[14:15], v[22:23]
	v_pk_fma_f32 v[20:21], v[4:5], v[14:15], v[22:23] op_sel_hi:[0,1,1] neg_lo:[1,0,0] neg_hi:[1,0,0]
	v_mov_b32_e32 v17, v21
	v_pk_fma_f32 v[2:3], v[4:5], v[14:15], v[2:3] op_sel_hi:[0,1,1] neg_lo:[1,0,0] neg_hi:[1,0,0]
	ds_write_b64 v56, v[16:17]
	ds_write_b64 v6, v[2:3] offset:3072
	ds_read_b64 v[2:3], v55
	ds_read_b64 v[4:5], v6 offset:2816
	v_mov_b32_e32 v14, v1
	v_mov_b32_e32 v15, v9
	s_waitcnt lgkmcnt(0)
	v_pk_add_f32 v[16:17], v[2:3], v[4:5]
	v_pk_add_f32 v[2:3], v[2:3], v[4:5] neg_lo:[0,1] neg_hi:[0,1]
	v_mov_b32_e32 v4, v17
	v_mov_b32_e32 v5, v2
	v_pk_mul_f32 v[4:5], v[4:5], 0.5 op_sel_hi:[1,0]
	s_nop 0
	v_mov_b32_e32 v2, v5
	v_mov_b32_e32 v17, v4
	v_pk_mul_f32 v[2:3], v[0:1], v[2:3]
	s_waitcnt vmcnt(2)
	v_mov_b32_e32 v0, v11
	v_pk_fma_f32 v[20:21], v[16:17], v[14:15], v[2:3]
	v_pk_fma_f32 v[2:3], v[16:17], v[14:15], v[2:3] neg_lo:[0,0,1] neg_hi:[0,0,1]
	v_pk_fma_f32 v[14:15], v[8:9], v[4:5], v[20:21]
	v_pk_fma_f32 v[16:17], v[8:9], v[4:5], v[20:21] op_sel_hi:[0,1,1] neg_lo:[1,0,0] neg_hi:[1,0,0]
	v_mov_b32_e32 v15, v17
	v_pk_fma_f32 v[2:3], v[8:9], v[4:5], v[2:3] op_sel_hi:[0,1,1] neg_lo:[1,0,0] neg_hi:[1,0,0]
	ds_write_b64 v55, v[14:15]
	ds_write_b64 v6, v[2:3] offset:2816
	ds_read_b64 v[2:3], v54
	ds_read_b64 v[4:5], v6 offset:2560
	v_mov_b32_e32 v8, v1
	v_mov_b32_e32 v9, v11
	s_waitcnt lgkmcnt(0)
	v_pk_add_f32 v[14:15], v[2:3], v[4:5]
	v_pk_add_f32 v[2:3], v[2:3], v[4:5] neg_lo:[0,1] neg_hi:[0,1]
	v_mov_b32_e32 v4, v15
	v_mov_b32_e32 v5, v2
	v_pk_mul_f32 v[4:5], v[4:5], 0.5 op_sel_hi:[1,0]
	s_nop 0
	v_mov_b32_e32 v2, v5
	v_mov_b32_e32 v15, v4
	v_pk_mul_f32 v[2:3], v[0:1], v[2:3]
	s_waitcnt vmcnt(1)
	v_mov_b32_e32 v0, v13
	v_pk_fma_f32 v[16:17], v[14:15], v[8:9], v[2:3]
	v_pk_fma_f32 v[2:3], v[14:15], v[8:9], v[2:3] neg_lo:[0,0,1] neg_hi:[0,0,1]
	v_pk_fma_f32 v[8:9], v[10:11], v[4:5], v[16:17]
	v_pk_fma_f32 v[14:15], v[10:11], v[4:5], v[16:17] op_sel_hi:[0,1,1] neg_lo:[1,0,0] neg_hi:[1,0,0]
	v_mov_b32_e32 v9, v15
	v_pk_fma_f32 v[2:3], v[10:11], v[4:5], v[2:3] op_sel_hi:[0,1,1] neg_lo:[1,0,0] neg_hi:[1,0,0]
	ds_write_b64 v54, v[8:9]
	ds_write_b64 v6, v[2:3] offset:2560
	ds_read_b64 v[2:3], v53
	ds_read_b64 v[4:5], v6 offset:2304
	v_mov_b32_e32 v8, v1
	v_mov_b32_e32 v9, v13
	s_waitcnt lgkmcnt(0)
	v_pk_add_f32 v[10:11], v[2:3], v[4:5]
	v_pk_add_f32 v[2:3], v[2:3], v[4:5] neg_lo:[0,1] neg_hi:[0,1]
	v_mov_b32_e32 v4, v11
	v_mov_b32_e32 v5, v2
	v_pk_mul_f32 v[4:5], v[4:5], 0.5 op_sel_hi:[1,0]
	s_nop 0
	v_mov_b32_e32 v2, v5
	v_mov_b32_e32 v11, v4
	v_pk_mul_f32 v[2:3], v[0:1], v[2:3]
	s_waitcnt vmcnt(0)
	v_mov_b32_e32 v0, v19
	v_pk_fma_f32 v[14:15], v[10:11], v[8:9], v[2:3]
	v_pk_fma_f32 v[2:3], v[10:11], v[8:9], v[2:3] neg_lo:[0,0,1] neg_hi:[0,0,1]
	v_pk_fma_f32 v[8:9], v[12:13], v[4:5], v[14:15]
	v_pk_fma_f32 v[10:11], v[12:13], v[4:5], v[14:15] op_sel_hi:[0,1,1] neg_lo:[1,0,0] neg_hi:[1,0,0]
	v_mov_b32_e32 v9, v11
	v_pk_fma_f32 v[2:3], v[12:13], v[4:5], v[2:3] op_sel_hi:[0,1,1] neg_lo:[1,0,0] neg_hi:[1,0,0]
	ds_write_b64 v53, v[8:9]
	ds_write_b64 v6, v[2:3] offset:2304
	ds_read_b64 v[2:3], v52
	ds_read_b64 v[4:5], v6 offset:2048
	v_mov_b32_e32 v8, v1
	v_mov_b32_e32 v9, v19
	s_waitcnt lgkmcnt(0)
	v_pk_add_f32 v[10:11], v[2:3], v[4:5]
	v_pk_add_f32 v[2:3], v[2:3], v[4:5] neg_lo:[0,1] neg_hi:[0,1]
	v_mov_b32_e32 v4, v11
	v_mov_b32_e32 v5, v2
	v_pk_mul_f32 v[4:5], v[4:5], 0.5 op_sel_hi:[1,0]
	s_nop 0
	v_mov_b32_e32 v2, v5
	v_mov_b32_e32 v11, v4
	v_pk_mul_f32 v[2:3], v[0:1], v[2:3]
	s_nop 0
	v_pk_fma_f32 v[12:13], v[10:11], v[8:9], v[2:3]
	v_pk_fma_f32 v[2:3], v[10:11], v[8:9], v[2:3] neg_lo:[0,0,1] neg_hi:[0,0,1]
	v_pk_fma_f32 v[8:9], v[18:19], v[4:5], v[12:13]
	v_pk_fma_f32 v[10:11], v[18:19], v[4:5], v[12:13] op_sel_hi:[0,1,1] neg_lo:[1,0,0] neg_hi:[1,0,0]
	v_mov_b32_e32 v9, v11
	v_pk_fma_f32 v[2:3], v[18:19], v[4:5], v[2:3] op_sel_hi:[0,1,1] neg_lo:[1,0,0] neg_hi:[1,0,0]
	ds_write_b64 v52, v[8:9]
	ds_write_b64 v6, v[2:3] offset:2048
	s_and_saveexec_b64 s[4:5], s[0:1]
	s_cbranch_execz .LBB0_27
; %bb.26:
	v_mov_b32_e32 v37, v35
	v_lshl_add_u64 v[2:3], v[36:37], 3, s[8:9]
	global_load_dwordx2 v[2:3], v[2:3], off offset:3224
	v_lshl_add_u32 v7, v36, 3, v104
	ds_read_b64 v[4:5], v7
	ds_read_b64 v[8:9], v6 offset:1792
	v_mov_b32_e32 v10, v1
	s_waitcnt lgkmcnt(0)
	v_pk_add_f32 v[12:13], v[4:5], v[8:9]
	v_pk_add_f32 v[4:5], v[4:5], v[8:9] neg_lo:[0,1] neg_hi:[0,1]
	v_mov_b32_e32 v8, v13
	v_mov_b32_e32 v9, v4
	v_pk_mul_f32 v[8:9], v[8:9], 0.5 op_sel_hi:[1,0]
	s_waitcnt vmcnt(0)
	v_mov_b32_e32 v0, v3
	v_mov_b32_e32 v4, v9
	v_mov_b32_e32 v13, v8
	v_mov_b32_e32 v11, v3
	v_pk_mul_f32 v[0:1], v[0:1], v[4:5]
	s_nop 0
	v_pk_fma_f32 v[4:5], v[12:13], v[10:11], v[0:1]
	v_pk_fma_f32 v[0:1], v[12:13], v[10:11], v[0:1] neg_lo:[0,0,1] neg_hi:[0,0,1]
	v_pk_fma_f32 v[10:11], v[2:3], v[8:9], v[4:5]
	v_pk_fma_f32 v[4:5], v[2:3], v[8:9], v[4:5] op_sel_hi:[0,1,1] neg_lo:[1,0,0] neg_hi:[1,0,0]
	v_mov_b32_e32 v11, v5
	v_pk_fma_f32 v[0:1], v[2:3], v[8:9], v[0:1] op_sel_hi:[0,1,1] neg_lo:[1,0,0] neg_hi:[1,0,0]
	ds_write_b64 v7, v[10:11]
	ds_write_b64 v6, v[0:1] offset:1792
.LBB0_27:
	s_or_b64 exec, exec, s[4:5]
	s_waitcnt lgkmcnt(0)
	; wave barrier
	s_waitcnt lgkmcnt(0)
	s_and_saveexec_b64 s[0:1], vcc
	s_cbranch_execz .LBB0_30
; %bb.28:
	v_mul_lo_u32 v2, s3, v30
	v_mul_lo_u32 v3, s2, v31
	v_mad_u64_u32 v[0:1], s[0:1], s2, v30, 0
	v_add3_u32 v1, v1, v3, v2
	v_lshl_add_u32 v2, v32, 3, v104
	ds_read2_b64 v[4:7], v2 offset1:32
	v_lshl_add_u64 v[0:1], v[0:1], 3, s[6:7]
	v_mov_b32_e32 v33, 0
	v_lshl_add_u64 v[0:1], v[28:29], 3, v[0:1]
	v_lshl_add_u64 v[8:9], v[32:33], 3, v[0:1]
	s_waitcnt lgkmcnt(0)
	global_store_dwordx2 v[8:9], v[4:5], off
	ds_read2_b64 v[8:11], v2 offset0:64 offset1:96
	v_add_u32_e32 v4, 32, v32
	v_mov_b32_e32 v5, v33
	v_lshl_add_u64 v[4:5], v[4:5], 3, v[0:1]
	global_store_dwordx2 v[4:5], v[6:7], off
	v_add_u32_e32 v4, 64, v32
	v_mov_b32_e32 v5, v33
	v_lshl_add_u64 v[4:5], v[4:5], 3, v[0:1]
	s_waitcnt lgkmcnt(0)
	global_store_dwordx2 v[4:5], v[8:9], off
	v_add_u32_e32 v4, 0x60, v32
	v_mov_b32_e32 v5, v33
	v_lshl_add_u64 v[8:9], v[4:5], 3, v[0:1]
	ds_read2_b64 v[4:7], v2 offset0:128 offset1:160
	global_store_dwordx2 v[8:9], v[10:11], off
	v_add_u32_e32 v8, 0x80, v32
	v_mov_b32_e32 v9, v33
	v_lshl_add_u64 v[8:9], v[8:9], 3, v[0:1]
	s_waitcnt lgkmcnt(0)
	global_store_dwordx2 v[8:9], v[4:5], off
	ds_read2_b64 v[8:11], v2 offset0:192 offset1:224
	v_add_u32_e32 v4, 0xa0, v32
	v_mov_b32_e32 v5, v33
	v_lshl_add_u64 v[4:5], v[4:5], 3, v[0:1]
	global_store_dwordx2 v[4:5], v[6:7], off
	v_add_u32_e32 v4, 0xc0, v32
	v_mov_b32_e32 v5, v33
	v_lshl_add_u64 v[4:5], v[4:5], 3, v[0:1]
	s_waitcnt lgkmcnt(0)
	global_store_dwordx2 v[4:5], v[8:9], off
	v_add_u32_e32 v4, 0xe0, v32
	v_mov_b32_e32 v5, v33
	v_add_u32_e32 v3, 0x800, v2
	v_lshl_add_u64 v[8:9], v[4:5], 3, v[0:1]
	ds_read2_b64 v[4:7], v3 offset1:32
	global_store_dwordx2 v[8:9], v[10:11], off
	v_add_u32_e32 v8, 0x100, v32
	v_mov_b32_e32 v9, v33
	v_lshl_add_u64 v[8:9], v[8:9], 3, v[0:1]
	s_waitcnt lgkmcnt(0)
	global_store_dwordx2 v[8:9], v[4:5], off
	ds_read2_b64 v[8:11], v3 offset0:64 offset1:96
	v_add_u32_e32 v4, 0x120, v32
	v_mov_b32_e32 v5, v33
	v_lshl_add_u64 v[4:5], v[4:5], 3, v[0:1]
	global_store_dwordx2 v[4:5], v[6:7], off
	v_add_u32_e32 v4, 0x140, v32
	v_mov_b32_e32 v5, v33
	v_lshl_add_u64 v[4:5], v[4:5], 3, v[0:1]
	ds_read_b64 v[6:7], v2 offset:3072
	s_waitcnt lgkmcnt(1)
	global_store_dwordx2 v[4:5], v[8:9], off
	v_add_u32_e32 v4, 0x160, v32
	v_mov_b32_e32 v5, v33
	v_lshl_add_u64 v[4:5], v[4:5], 3, v[0:1]
	global_store_dwordx2 v[4:5], v[10:11], off
	v_add_u32_e32 v4, 0x180, v32
	v_mov_b32_e32 v5, v33
	v_lshl_add_u64 v[4:5], v[4:5], 3, v[0:1]
	v_cmp_eq_u32_e32 vcc, 31, v32
	s_waitcnt lgkmcnt(0)
	global_store_dwordx2 v[4:5], v[6:7], off
	s_and_b64 exec, exec, vcc
	s_cbranch_execz .LBB0_30
; %bb.29:
	ds_read_b64 v[2:3], v2 offset:3080
	s_waitcnt lgkmcnt(0)
	global_store_dwordx2 v[0:1], v[2:3], off offset:3328
.LBB0_30:
	s_endpgm
	.section	.rodata,"a",@progbits
	.p2align	6, 0x0
	.amdhsa_kernel fft_rtc_back_len416_factors_13_2_16_wgs_64_tpt_32_sp_op_CI_CI_unitstride_sbrr_R2C_dirReg
		.amdhsa_group_segment_fixed_size 0
		.amdhsa_private_segment_fixed_size 0
		.amdhsa_kernarg_size 104
		.amdhsa_user_sgpr_count 2
		.amdhsa_user_sgpr_dispatch_ptr 0
		.amdhsa_user_sgpr_queue_ptr 0
		.amdhsa_user_sgpr_kernarg_segment_ptr 1
		.amdhsa_user_sgpr_dispatch_id 0
		.amdhsa_user_sgpr_kernarg_preload_length 0
		.amdhsa_user_sgpr_kernarg_preload_offset 0
		.amdhsa_user_sgpr_private_segment_size 0
		.amdhsa_uses_dynamic_stack 0
		.amdhsa_enable_private_segment 0
		.amdhsa_system_sgpr_workgroup_id_x 1
		.amdhsa_system_sgpr_workgroup_id_y 0
		.amdhsa_system_sgpr_workgroup_id_z 0
		.amdhsa_system_sgpr_workgroup_info 0
		.amdhsa_system_vgpr_workitem_id 0
		.amdhsa_next_free_vgpr 160
		.amdhsa_next_free_sgpr 38
		.amdhsa_accum_offset 160
		.amdhsa_reserve_vcc 1
		.amdhsa_float_round_mode_32 0
		.amdhsa_float_round_mode_16_64 0
		.amdhsa_float_denorm_mode_32 3
		.amdhsa_float_denorm_mode_16_64 3
		.amdhsa_dx10_clamp 1
		.amdhsa_ieee_mode 1
		.amdhsa_fp16_overflow 0
		.amdhsa_tg_split 0
		.amdhsa_exception_fp_ieee_invalid_op 0
		.amdhsa_exception_fp_denorm_src 0
		.amdhsa_exception_fp_ieee_div_zero 0
		.amdhsa_exception_fp_ieee_overflow 0
		.amdhsa_exception_fp_ieee_underflow 0
		.amdhsa_exception_fp_ieee_inexact 0
		.amdhsa_exception_int_div_zero 0
	.end_amdhsa_kernel
	.text
.Lfunc_end0:
	.size	fft_rtc_back_len416_factors_13_2_16_wgs_64_tpt_32_sp_op_CI_CI_unitstride_sbrr_R2C_dirReg, .Lfunc_end0-fft_rtc_back_len416_factors_13_2_16_wgs_64_tpt_32_sp_op_CI_CI_unitstride_sbrr_R2C_dirReg
                                        ; -- End function
	.section	.AMDGPU.csdata,"",@progbits
; Kernel info:
; codeLenInByte = 8792
; NumSgprs: 44
; NumVgprs: 160
; NumAgprs: 0
; TotalNumVgprs: 160
; ScratchSize: 0
; MemoryBound: 0
; FloatMode: 240
; IeeeMode: 1
; LDSByteSize: 0 bytes/workgroup (compile time only)
; SGPRBlocks: 5
; VGPRBlocks: 19
; NumSGPRsForWavesPerEU: 44
; NumVGPRsForWavesPerEU: 160
; AccumOffset: 160
; Occupancy: 3
; WaveLimiterHint : 1
; COMPUTE_PGM_RSRC2:SCRATCH_EN: 0
; COMPUTE_PGM_RSRC2:USER_SGPR: 2
; COMPUTE_PGM_RSRC2:TRAP_HANDLER: 0
; COMPUTE_PGM_RSRC2:TGID_X_EN: 1
; COMPUTE_PGM_RSRC2:TGID_Y_EN: 0
; COMPUTE_PGM_RSRC2:TGID_Z_EN: 0
; COMPUTE_PGM_RSRC2:TIDIG_COMP_CNT: 0
; COMPUTE_PGM_RSRC3_GFX90A:ACCUM_OFFSET: 39
; COMPUTE_PGM_RSRC3_GFX90A:TG_SPLIT: 0
	.text
	.p2alignl 6, 3212836864
	.fill 256, 4, 3212836864
	.type	__hip_cuid_a3d495c2367025f4,@object ; @__hip_cuid_a3d495c2367025f4
	.section	.bss,"aw",@nobits
	.globl	__hip_cuid_a3d495c2367025f4
__hip_cuid_a3d495c2367025f4:
	.byte	0                               ; 0x0
	.size	__hip_cuid_a3d495c2367025f4, 1

	.ident	"AMD clang version 19.0.0git (https://github.com/RadeonOpenCompute/llvm-project roc-6.4.0 25133 c7fe45cf4b819c5991fe208aaa96edf142730f1d)"
	.section	".note.GNU-stack","",@progbits
	.addrsig
	.addrsig_sym __hip_cuid_a3d495c2367025f4
	.amdgpu_metadata
---
amdhsa.kernels:
  - .agpr_count:     0
    .args:
      - .actual_access:  read_only
        .address_space:  global
        .offset:         0
        .size:           8
        .value_kind:     global_buffer
      - .offset:         8
        .size:           8
        .value_kind:     by_value
      - .actual_access:  read_only
        .address_space:  global
        .offset:         16
        .size:           8
        .value_kind:     global_buffer
      - .actual_access:  read_only
        .address_space:  global
        .offset:         24
        .size:           8
        .value_kind:     global_buffer
      - .actual_access:  read_only
        .address_space:  global
        .offset:         32
        .size:           8
        .value_kind:     global_buffer
      - .offset:         40
        .size:           8
        .value_kind:     by_value
      - .actual_access:  read_only
        .address_space:  global
        .offset:         48
        .size:           8
        .value_kind:     global_buffer
      - .actual_access:  read_only
        .address_space:  global
        .offset:         56
        .size:           8
        .value_kind:     global_buffer
      - .offset:         64
        .size:           4
        .value_kind:     by_value
      - .actual_access:  read_only
        .address_space:  global
        .offset:         72
        .size:           8
        .value_kind:     global_buffer
      - .actual_access:  read_only
        .address_space:  global
        .offset:         80
        .size:           8
        .value_kind:     global_buffer
      - .actual_access:  read_only
        .address_space:  global
        .offset:         88
        .size:           8
        .value_kind:     global_buffer
      - .actual_access:  write_only
        .address_space:  global
        .offset:         96
        .size:           8
        .value_kind:     global_buffer
    .group_segment_fixed_size: 0
    .kernarg_segment_align: 8
    .kernarg_segment_size: 104
    .language:       OpenCL C
    .language_version:
      - 2
      - 0
    .max_flat_workgroup_size: 64
    .name:           fft_rtc_back_len416_factors_13_2_16_wgs_64_tpt_32_sp_op_CI_CI_unitstride_sbrr_R2C_dirReg
    .private_segment_fixed_size: 0
    .sgpr_count:     44
    .sgpr_spill_count: 0
    .symbol:         fft_rtc_back_len416_factors_13_2_16_wgs_64_tpt_32_sp_op_CI_CI_unitstride_sbrr_R2C_dirReg.kd
    .uniform_work_group_size: 1
    .uses_dynamic_stack: false
    .vgpr_count:     160
    .vgpr_spill_count: 0
    .wavefront_size: 64
amdhsa.target:   amdgcn-amd-amdhsa--gfx950
amdhsa.version:
  - 1
  - 2
...

	.end_amdgpu_metadata
